;; amdgpu-corpus repo=ROCm/rocFFT kind=compiled arch=gfx906 opt=O3
	.text
	.amdgcn_target "amdgcn-amd-amdhsa--gfx906"
	.amdhsa_code_object_version 6
	.protected	fft_rtc_back_len2430_factors_10_3_3_3_3_3_wgs_81_tpt_81_halfLds_dp_op_CI_CI_sbrr_dirReg ; -- Begin function fft_rtc_back_len2430_factors_10_3_3_3_3_3_wgs_81_tpt_81_halfLds_dp_op_CI_CI_sbrr_dirReg
	.globl	fft_rtc_back_len2430_factors_10_3_3_3_3_3_wgs_81_tpt_81_halfLds_dp_op_CI_CI_sbrr_dirReg
	.p2align	8
	.type	fft_rtc_back_len2430_factors_10_3_3_3_3_3_wgs_81_tpt_81_halfLds_dp_op_CI_CI_sbrr_dirReg,@function
fft_rtc_back_len2430_factors_10_3_3_3_3_3_wgs_81_tpt_81_halfLds_dp_op_CI_CI_sbrr_dirReg: ; @fft_rtc_back_len2430_factors_10_3_3_3_3_3_wgs_81_tpt_81_halfLds_dp_op_CI_CI_sbrr_dirReg
; %bb.0:
	s_load_dwordx4 s[16:19], s[4:5], 0x18
	s_load_dwordx4 s[12:15], s[4:5], 0x0
	;; [unrolled: 1-line block ×3, first 2 shown]
	v_mul_u32_u24_e32 v1, 0x32a, v0
	v_add_u32_sdwa v6, s6, v1 dst_sel:DWORD dst_unused:UNUSED_PAD src0_sel:DWORD src1_sel:WORD_1
	s_waitcnt lgkmcnt(0)
	s_load_dwordx2 s[20:21], s[16:17], 0x0
	s_load_dwordx2 s[2:3], s[18:19], 0x0
	v_cmp_lt_u64_e64 s[0:1], s[14:15], 2
	v_mov_b32_e32 v1, 0
	v_mov_b32_e32 v4, 0
	;; [unrolled: 1-line block ×3, first 2 shown]
	s_and_b64 vcc, exec, s[0:1]
	v_mov_b32_e32 v5, 0
	s_cbranch_vccnz .LBB0_8
; %bb.1:
	s_load_dwordx2 s[0:1], s[4:5], 0x10
	s_add_u32 s6, s18, 8
	s_addc_u32 s7, s19, 0
	s_add_u32 s22, s16, 8
	v_mov_b32_e32 v4, 0
	s_addc_u32 s23, s17, 0
	v_mov_b32_e32 v5, 0
	s_waitcnt lgkmcnt(0)
	s_add_u32 s24, s0, 8
	v_mov_b32_e32 v121, v5
	s_addc_u32 s25, s1, 0
	s_mov_b64 s[26:27], 1
	v_mov_b32_e32 v120, v4
.LBB0_2:                                ; =>This Inner Loop Header: Depth=1
	s_load_dwordx2 s[28:29], s[24:25], 0x0
                                        ; implicit-def: $vgpr122_vgpr123
	s_waitcnt lgkmcnt(0)
	v_or_b32_e32 v2, s29, v7
	v_cmp_ne_u64_e32 vcc, 0, v[1:2]
	s_and_saveexec_b64 s[0:1], vcc
	s_xor_b64 s[30:31], exec, s[0:1]
	s_cbranch_execz .LBB0_4
; %bb.3:                                ;   in Loop: Header=BB0_2 Depth=1
	v_cvt_f32_u32_e32 v2, s28
	v_cvt_f32_u32_e32 v3, s29
	s_sub_u32 s0, 0, s28
	s_subb_u32 s1, 0, s29
	v_mac_f32_e32 v2, 0x4f800000, v3
	v_rcp_f32_e32 v2, v2
	v_mul_f32_e32 v2, 0x5f7ffffc, v2
	v_mul_f32_e32 v3, 0x2f800000, v2
	v_trunc_f32_e32 v3, v3
	v_mac_f32_e32 v2, 0xcf800000, v3
	v_cvt_u32_f32_e32 v3, v3
	v_cvt_u32_f32_e32 v2, v2
	v_mul_lo_u32 v8, s0, v3
	v_mul_hi_u32 v9, s0, v2
	v_mul_lo_u32 v11, s1, v2
	v_mul_lo_u32 v10, s0, v2
	v_add_u32_e32 v8, v9, v8
	v_add_u32_e32 v8, v8, v11
	v_mul_hi_u32 v9, v2, v10
	v_mul_lo_u32 v11, v2, v8
	v_mul_hi_u32 v13, v2, v8
	v_mul_hi_u32 v12, v3, v10
	v_mul_lo_u32 v10, v3, v10
	v_mul_hi_u32 v14, v3, v8
	v_add_co_u32_e32 v9, vcc, v9, v11
	v_addc_co_u32_e32 v11, vcc, 0, v13, vcc
	v_mul_lo_u32 v8, v3, v8
	v_add_co_u32_e32 v9, vcc, v9, v10
	v_addc_co_u32_e32 v9, vcc, v11, v12, vcc
	v_addc_co_u32_e32 v10, vcc, 0, v14, vcc
	v_add_co_u32_e32 v8, vcc, v9, v8
	v_addc_co_u32_e32 v9, vcc, 0, v10, vcc
	v_add_co_u32_e32 v2, vcc, v2, v8
	v_addc_co_u32_e32 v3, vcc, v3, v9, vcc
	v_mul_lo_u32 v8, s0, v3
	v_mul_hi_u32 v9, s0, v2
	v_mul_lo_u32 v10, s1, v2
	v_mul_lo_u32 v11, s0, v2
	v_add_u32_e32 v8, v9, v8
	v_add_u32_e32 v8, v8, v10
	v_mul_lo_u32 v12, v2, v8
	v_mul_hi_u32 v13, v2, v11
	v_mul_hi_u32 v14, v2, v8
	;; [unrolled: 1-line block ×3, first 2 shown]
	v_mul_lo_u32 v11, v3, v11
	v_mul_hi_u32 v9, v3, v8
	v_add_co_u32_e32 v12, vcc, v13, v12
	v_addc_co_u32_e32 v13, vcc, 0, v14, vcc
	v_mul_lo_u32 v8, v3, v8
	v_add_co_u32_e32 v11, vcc, v12, v11
	v_addc_co_u32_e32 v10, vcc, v13, v10, vcc
	v_addc_co_u32_e32 v9, vcc, 0, v9, vcc
	v_add_co_u32_e32 v8, vcc, v10, v8
	v_addc_co_u32_e32 v9, vcc, 0, v9, vcc
	v_add_co_u32_e32 v8, vcc, v2, v8
	v_addc_co_u32_e32 v9, vcc, v3, v9, vcc
	v_mad_u64_u32 v[2:3], s[0:1], v6, v9, 0
	v_mul_hi_u32 v10, v6, v8
	v_add_co_u32_e32 v10, vcc, v10, v2
	v_addc_co_u32_e32 v11, vcc, 0, v3, vcc
	v_mad_u64_u32 v[2:3], s[0:1], v7, v8, 0
	v_mad_u64_u32 v[8:9], s[0:1], v7, v9, 0
	v_add_co_u32_e32 v2, vcc, v10, v2
	v_addc_co_u32_e32 v2, vcc, v11, v3, vcc
	v_addc_co_u32_e32 v3, vcc, 0, v9, vcc
	v_add_co_u32_e32 v8, vcc, v2, v8
	v_addc_co_u32_e32 v9, vcc, 0, v3, vcc
	v_mul_lo_u32 v10, s29, v8
	v_mul_lo_u32 v11, s28, v9
	v_mad_u64_u32 v[2:3], s[0:1], s28, v8, 0
	v_add3_u32 v3, v3, v11, v10
	v_sub_u32_e32 v10, v7, v3
	v_mov_b32_e32 v11, s29
	v_sub_co_u32_e32 v2, vcc, v6, v2
	v_subb_co_u32_e64 v10, s[0:1], v10, v11, vcc
	v_subrev_co_u32_e64 v11, s[0:1], s28, v2
	v_subbrev_co_u32_e64 v10, s[0:1], 0, v10, s[0:1]
	v_cmp_le_u32_e64 s[0:1], s29, v10
	v_cndmask_b32_e64 v12, 0, -1, s[0:1]
	v_cmp_le_u32_e64 s[0:1], s28, v11
	v_cndmask_b32_e64 v11, 0, -1, s[0:1]
	v_cmp_eq_u32_e64 s[0:1], s29, v10
	v_cndmask_b32_e64 v10, v12, v11, s[0:1]
	v_add_co_u32_e64 v11, s[0:1], 2, v8
	v_addc_co_u32_e64 v12, s[0:1], 0, v9, s[0:1]
	v_add_co_u32_e64 v13, s[0:1], 1, v8
	v_addc_co_u32_e64 v14, s[0:1], 0, v9, s[0:1]
	v_subb_co_u32_e32 v3, vcc, v7, v3, vcc
	v_cmp_ne_u32_e64 s[0:1], 0, v10
	v_cmp_le_u32_e32 vcc, s29, v3
	v_cndmask_b32_e64 v10, v14, v12, s[0:1]
	v_cndmask_b32_e64 v12, 0, -1, vcc
	v_cmp_le_u32_e32 vcc, s28, v2
	v_cndmask_b32_e64 v2, 0, -1, vcc
	v_cmp_eq_u32_e32 vcc, s29, v3
	v_cndmask_b32_e32 v2, v12, v2, vcc
	v_cmp_ne_u32_e32 vcc, 0, v2
	v_cndmask_b32_e64 v2, v13, v11, s[0:1]
	v_cndmask_b32_e32 v123, v9, v10, vcc
	v_cndmask_b32_e32 v122, v8, v2, vcc
.LBB0_4:                                ;   in Loop: Header=BB0_2 Depth=1
	s_andn2_saveexec_b64 s[0:1], s[30:31]
	s_cbranch_execz .LBB0_6
; %bb.5:                                ;   in Loop: Header=BB0_2 Depth=1
	v_cvt_f32_u32_e32 v2, s28
	s_sub_i32 s30, 0, s28
	v_mov_b32_e32 v123, v1
	v_rcp_iflag_f32_e32 v2, v2
	v_mul_f32_e32 v2, 0x4f7ffffe, v2
	v_cvt_u32_f32_e32 v2, v2
	v_mul_lo_u32 v3, s30, v2
	v_mul_hi_u32 v3, v2, v3
	v_add_u32_e32 v2, v2, v3
	v_mul_hi_u32 v2, v6, v2
	v_mul_lo_u32 v3, v2, s28
	v_add_u32_e32 v8, 1, v2
	v_sub_u32_e32 v3, v6, v3
	v_subrev_u32_e32 v9, s28, v3
	v_cmp_le_u32_e32 vcc, s28, v3
	v_cndmask_b32_e32 v3, v3, v9, vcc
	v_cndmask_b32_e32 v2, v2, v8, vcc
	v_add_u32_e32 v8, 1, v2
	v_cmp_le_u32_e32 vcc, s28, v3
	v_cndmask_b32_e32 v122, v2, v8, vcc
.LBB0_6:                                ;   in Loop: Header=BB0_2 Depth=1
	s_or_b64 exec, exec, s[0:1]
	v_mul_lo_u32 v8, v123, s28
	v_mul_lo_u32 v9, v122, s29
	v_mad_u64_u32 v[2:3], s[0:1], v122, s28, 0
	s_load_dwordx2 s[0:1], s[22:23], 0x0
	s_load_dwordx2 s[28:29], s[6:7], 0x0
	v_add3_u32 v3, v3, v9, v8
	v_sub_co_u32_e32 v2, vcc, v6, v2
	v_subb_co_u32_e32 v3, vcc, v7, v3, vcc
	s_waitcnt lgkmcnt(0)
	v_mul_lo_u32 v6, s0, v3
	v_mul_lo_u32 v7, s1, v2
	v_mad_u64_u32 v[4:5], s[0:1], s0, v2, v[4:5]
	v_mul_lo_u32 v3, s28, v3
	v_mul_lo_u32 v8, s29, v2
	v_mad_u64_u32 v[120:121], s[0:1], s28, v2, v[120:121]
	s_add_u32 s26, s26, 1
	s_addc_u32 s27, s27, 0
	s_add_u32 s6, s6, 8
	v_add3_u32 v121, v8, v121, v3
	s_addc_u32 s7, s7, 0
	v_mov_b32_e32 v2, s14
	s_add_u32 s22, s22, 8
	v_mov_b32_e32 v3, s15
	s_addc_u32 s23, s23, 0
	v_cmp_ge_u64_e32 vcc, s[26:27], v[2:3]
	s_add_u32 s24, s24, 8
	v_add3_u32 v5, v7, v5, v6
	s_addc_u32 s25, s25, 0
	s_cbranch_vccnz .LBB0_9
; %bb.7:                                ;   in Loop: Header=BB0_2 Depth=1
	v_mov_b32_e32 v6, v122
	v_mov_b32_e32 v7, v123
	s_branch .LBB0_2
.LBB0_8:
	v_mov_b32_e32 v121, v5
	v_mov_b32_e32 v123, v7
	;; [unrolled: 1-line block ×4, first 2 shown]
.LBB0_9:
	s_load_dwordx2 s[0:1], s[4:5], 0x28
	s_lshl_b64 s[14:15], s[14:15], 3
	s_add_u32 s4, s18, s14
	s_addc_u32 s5, s19, s15
                                        ; implicit-def: $vgpr124
                                        ; implicit-def: $vgpr129
                                        ; implicit-def: $vgpr132
                                        ; implicit-def: $vgpr125
                                        ; implicit-def: $vgpr127
                                        ; implicit-def: $vgpr131
                                        ; implicit-def: $vgpr126
                                        ; implicit-def: $vgpr130
                                        ; implicit-def: $vgpr133
                                        ; implicit-def: $vgpr128
	s_waitcnt lgkmcnt(0)
	v_cmp_gt_u64_e32 vcc, s[0:1], v[122:123]
	v_cmp_le_u64_e64 s[0:1], s[0:1], v[122:123]
	s_and_saveexec_b64 s[6:7], s[0:1]
	s_xor_b64 s[0:1], exec, s[6:7]
	s_cbranch_execz .LBB0_11
; %bb.10:
	s_mov_b32 s6, 0x3291620
	v_mul_hi_u32 v1, v0, s6
                                        ; implicit-def: $vgpr4_vgpr5
	v_mul_u32_u24_e32 v1, 0x51, v1
	v_sub_u32_e32 v124, v0, v1
	v_add_u32_e32 v129, 0x51, v124
	v_add_u32_e32 v132, 0xa2, v124
	;; [unrolled: 1-line block ×9, first 2 shown]
                                        ; implicit-def: $vgpr0
.LBB0_11:
	s_or_saveexec_b64 s[6:7], s[0:1]
                                        ; implicit-def: $vgpr2_vgpr3
                                        ; implicit-def: $vgpr34_vgpr35
                                        ; implicit-def: $vgpr6_vgpr7
                                        ; implicit-def: $vgpr30_vgpr31
                                        ; implicit-def: $vgpr10_vgpr11
                                        ; implicit-def: $vgpr26_vgpr27
                                        ; implicit-def: $vgpr14_vgpr15
                                        ; implicit-def: $vgpr22_vgpr23
                                        ; implicit-def: $vgpr18_vgpr19
                                        ; implicit-def: $vgpr38_vgpr39
                                        ; implicit-def: $vgpr46_vgpr47
                                        ; implicit-def: $vgpr98_vgpr99
                                        ; implicit-def: $vgpr62_vgpr63
                                        ; implicit-def: $vgpr102_vgpr103
                                        ; implicit-def: $vgpr74_vgpr75
                                        ; implicit-def: $vgpr106_vgpr107
                                        ; implicit-def: $vgpr70_vgpr71
                                        ; implicit-def: $vgpr94_vgpr95
                                        ; implicit-def: $vgpr66_vgpr67
                                        ; implicit-def: $vgpr110_vgpr111
                                        ; implicit-def: $vgpr42_vgpr43
                                        ; implicit-def: $vgpr82_vgpr83
                                        ; implicit-def: $vgpr50_vgpr51
                                        ; implicit-def: $vgpr86_vgpr87
                                        ; implicit-def: $vgpr54_vgpr55
                                        ; implicit-def: $vgpr114_vgpr115
                                        ; implicit-def: $vgpr78_vgpr79
                                        ; implicit-def: $vgpr90_vgpr91
                                        ; implicit-def: $vgpr58_vgpr59
                                        ; implicit-def: $vgpr118_vgpr119
	s_xor_b64 exec, exec, s[6:7]
	s_cbranch_execz .LBB0_13
; %bb.12:
	s_add_u32 s0, s16, s14
	s_mov_b32 s14, 0x3291620
	s_addc_u32 s1, s17, s15
	v_mul_hi_u32 v1, v0, s14
	s_load_dwordx2 s[0:1], s[0:1], 0x0
	v_mul_u32_u24_e32 v1, 0x51, v1
	v_sub_u32_e32 v124, v0, v1
	s_waitcnt lgkmcnt(0)
	v_mul_lo_u32 v8, s1, v122
	v_mad_u64_u32 v[0:1], s[14:15], s20, v124, 0
	v_mul_lo_u32 v9, s0, v123
	v_mad_u64_u32 v[2:3], s[0:1], s0, v122, 0
	v_add_u32_e32 v125, 0xf3, v124
	v_add_u32_e32 v126, 0x1e6, v124
	v_mad_u64_u32 v[6:7], s[0:1], s21, v124, v[1:2]
	v_add3_u32 v3, v3, v9, v8
	v_lshlrev_b64 v[2:3], 4, v[2:3]
	v_mov_b32_e32 v1, v6
	v_mov_b32_e32 v6, s9
	v_add_co_u32_e64 v7, s[0:1], s8, v2
	v_addc_co_u32_e64 v6, s[0:1], v6, v3, s[0:1]
	v_lshlrev_b64 v[2:3], 4, v[4:5]
	v_mad_u64_u32 v[4:5], s[0:1], s20, v125, 0
	v_add_co_u32_e64 v18, s[0:1], v7, v2
	v_mov_b32_e32 v2, v5
	v_addc_co_u32_e64 v19, s[0:1], v6, v3, s[0:1]
	v_mad_u64_u32 v[2:3], s[0:1], s21, v125, v[2:3]
	v_mad_u64_u32 v[6:7], s[0:1], s20, v126, 0
	v_lshlrev_b64 v[0:1], 4, v[0:1]
	v_mov_b32_e32 v5, v2
	v_add_co_u32_e64 v0, s[0:1], v18, v0
	v_lshlrev_b64 v[2:3], 4, v[4:5]
	v_mov_b32_e32 v4, v7
	v_addc_co_u32_e64 v1, s[0:1], v19, v1, s[0:1]
	v_mad_u64_u32 v[4:5], s[0:1], s21, v126, v[4:5]
	v_add_u32_e32 v128, 0x2d9, v124
	v_mad_u64_u32 v[8:9], s[0:1], s20, v128, 0
	v_mov_b32_e32 v7, v4
	v_add_co_u32_e64 v2, s[0:1], v18, v2
	v_lshlrev_b64 v[4:5], 4, v[6:7]
	v_mov_b32_e32 v6, v9
	v_addc_co_u32_e64 v3, s[0:1], v19, v3, s[0:1]
	v_mad_u64_u32 v[6:7], s[0:1], s21, v128, v[6:7]
	v_add_u32_e32 v12, 0x3cc, v124
	v_mad_u64_u32 v[10:11], s[0:1], s20, v12, 0
	;; [unrolled: 8-line block ×18, first 2 shown]
	v_mov_b32_e32 v43, v40
	v_add_co_u32_e64 v38, s[0:1], v18, v38
	v_lshlrev_b64 v[40:41], 4, v[42:43]
	v_mov_b32_e32 v42, v45
	v_add_u32_e32 v131, 0x195, v124
	v_addc_co_u32_e64 v39, s[0:1], v19, v39, s[0:1]
	v_mad_u64_u32 v[42:43], s[0:1], s21, v132, v[42:43]
	v_mad_u64_u32 v[46:47], s[0:1], s20, v131, 0
	v_add_co_u32_e64 v134, s[0:1], v18, v40
	v_mov_b32_e32 v45, v42
	v_mov_b32_e32 v42, v47
	v_addc_co_u32_e64 v135, s[0:1], v19, v41, s[0:1]
	v_mad_u64_u32 v[42:43], s[0:1], s21, v131, v[42:43]
	v_add_u32_e32 v133, 0x288, v124
	v_lshlrev_b64 v[40:41], 4, v[44:45]
	v_mad_u64_u32 v[43:44], s[0:1], s20, v133, 0
	v_add_co_u32_e64 v136, s[0:1], v18, v40
	v_mov_b32_e32 v47, v42
	v_mov_b32_e32 v42, v44
	v_addc_co_u32_e64 v137, s[0:1], v19, v41, s[0:1]
	v_lshlrev_b64 v[40:41], 4, v[46:47]
	v_mad_u64_u32 v[44:45], s[0:1], s21, v133, v[42:43]
	v_add_u32_e32 v47, 0x37b, v124
	v_mad_u64_u32 v[45:46], s[0:1], s20, v47, 0
	v_add_co_u32_e64 v138, s[0:1], v18, v40
	v_mov_b32_e32 v42, v46
	v_addc_co_u32_e64 v139, s[0:1], v19, v41, s[0:1]
	v_lshlrev_b64 v[40:41], 4, v[43:44]
	v_mad_u64_u32 v[42:43], s[0:1], s21, v47, v[42:43]
	v_add_u32_e32 v47, 0x46e, v124
	v_mad_u64_u32 v[43:44], s[0:1], s20, v47, 0
	v_add_co_u32_e64 v140, s[0:1], v18, v40
	v_mov_b32_e32 v46, v42
	v_mov_b32_e32 v42, v44
	v_addc_co_u32_e64 v141, s[0:1], v19, v41, s[0:1]
	v_lshlrev_b64 v[40:41], 4, v[45:46]
	v_mad_u64_u32 v[44:45], s[0:1], s21, v47, v[42:43]
	v_add_u32_e32 v47, 0x561, v124
	v_mad_u64_u32 v[45:46], s[0:1], s20, v47, 0
	v_add_co_u32_e64 v142, s[0:1], v18, v40
	v_mov_b32_e32 v42, v46
	v_addc_co_u32_e64 v143, s[0:1], v19, v41, s[0:1]
	v_lshlrev_b64 v[40:41], 4, v[43:44]
	v_mad_u64_u32 v[42:43], s[0:1], s21, v47, v[42:43]
	v_add_u32_e32 v47, 0x654, v124
	;; [unrolled: 15-line block ×3, first 2 shown]
	v_mad_u64_u32 v[43:44], s[0:1], s20, v47, 0
	v_add_co_u32_e64 v148, s[0:1], v18, v40
	v_mov_b32_e32 v46, v42
	v_mov_b32_e32 v42, v44
	v_addc_co_u32_e64 v149, s[0:1], v19, v41, s[0:1]
	v_lshlrev_b64 v[40:41], 4, v[45:46]
	v_mad_u64_u32 v[44:45], s[0:1], s21, v47, v[42:43]
	v_add_u32_e32 v47, 0x92d, v124
	v_mad_u64_u32 v[45:46], s[0:1], s20, v47, 0
	v_add_co_u32_e64 v150, s[0:1], v18, v40
	v_mov_b32_e32 v42, v46
	v_addc_co_u32_e64 v151, s[0:1], v19, v41, s[0:1]
	v_lshlrev_b64 v[40:41], 4, v[43:44]
	v_mad_u64_u32 v[42:43], s[0:1], s21, v47, v[42:43]
	v_add_co_u32_e64 v152, s[0:1], v18, v40
	v_mov_b32_e32 v46, v42
	global_load_dwordx4 v[116:119], v[0:1], off
	global_load_dwordx4 v[56:59], v[2:3], off
	v_lshlrev_b64 v[0:1], 4, v[45:46]
	v_addc_co_u32_e64 v153, s[0:1], v19, v41, s[0:1]
	v_add_co_u32_e64 v0, s[0:1], v18, v0
	v_addc_co_u32_e64 v1, s[0:1], v19, v1, s[0:1]
	global_load_dwordx4 v[88:91], v[4:5], off
	global_load_dwordx4 v[76:79], v[6:7], off
	;; [unrolled: 1-line block ×12, first 2 shown]
                                        ; kill: killed $vgpr4 killed $vgpr5
                                        ; kill: killed $vgpr12 killed $vgpr13
                                        ; kill: killed $vgpr26 killed $vgpr27
                                        ; kill: killed $vgpr14 killed $vgpr15
                                        ; kill: killed $vgpr28 killed $vgpr29
                                        ; kill: killed $vgpr16 killed $vgpr17
                                        ; kill: killed $vgpr24 killed $vgpr25
                                        ; kill: killed $vgpr20 killed $vgpr21
                                        ; kill: killed $vgpr6 killed $vgpr7
                                        ; kill: killed $vgpr22 killed $vgpr23
                                        ; kill: killed $vgpr8 killed $vgpr9
                                        ; kill: killed $vgpr10 killed $vgpr11
	global_load_dwordx4 v[104:107], v[30:31], off
	global_load_dwordx4 v[72:75], v[32:33], off
	;; [unrolled: 1-line block ×6, first 2 shown]
                                        ; kill: killed $vgpr134 killed $vgpr135
                                        ; kill: killed $vgpr30 killed $vgpr31
                                        ; kill: killed $vgpr32 killed $vgpr33
                                        ; kill: killed $vgpr34 killed $vgpr35
                                        ; kill: killed $vgpr36 killed $vgpr37
                                        ; kill: killed $vgpr38 killed $vgpr39
	s_nop 0
	global_load_dwordx4 v[36:39], v[136:137], off
	global_load_dwordx4 v[16:19], v[138:139], off
	;; [unrolled: 1-line block ×3, first 2 shown]
                                        ; kill: killed $vgpr140 killed $vgpr141
                                        ; kill: killed $vgpr138 killed $vgpr139
                                        ; kill: killed $vgpr136 killed $vgpr137
	global_load_dwordx4 v[12:15], v[142:143], off
	global_load_dwordx4 v[24:27], v[144:145], off
                                        ; kill: killed $vgpr142 killed $vgpr143
                                        ; kill: killed $vgpr144 killed $vgpr145
	global_load_dwordx4 v[8:11], v[146:147], off
	global_load_dwordx4 v[28:31], v[148:149], off
	;; [unrolled: 1-line block ×4, first 2 shown]
	s_nop 0
	global_load_dwordx4 v[0:3], v[0:1], off
.LBB0_13:
	s_or_b64 exec, exec, s[6:7]
	s_waitcnt vmcnt(23)
	v_add_f64 v[136:137], v[84:85], v[112:113]
	v_add_f64 v[134:135], v[88:89], v[116:117]
	s_waitcnt vmcnt(21)
	v_add_f64 v[138:139], v[90:91], -v[82:83]
	v_add_f64 v[146:147], v[80:81], v[88:89]
	s_mov_b32 s0, 0x134454ff
	s_mov_b32 s1, 0xbfee6f0e
	v_add_f64 v[140:141], v[114:115], -v[86:87]
	v_add_f64 v[142:143], v[88:89], -v[112:113]
	v_fma_f64 v[136:137], v[136:137], -0.5, v[116:117]
	v_add_f64 v[134:135], v[112:113], v[134:135]
	v_add_f64 v[144:145], v[80:81], -v[84:85]
	v_fma_f64 v[116:117], v[146:147], -0.5, v[116:117]
	s_mov_b32 s14, 0x4755a5e
	s_mov_b32 s15, 0xbfe2cf23
	;; [unrolled: 1-line block ×4, first 2 shown]
	v_fma_f64 v[148:149], v[138:139], s[0:1], v[136:137]
	v_add_f64 v[134:135], v[84:85], v[134:135]
	v_fma_f64 v[136:137], v[138:139], s[8:9], v[136:137]
	v_add_f64 v[142:143], v[144:145], v[142:143]
	v_add_f64 v[146:147], v[86:87], v[114:115]
	s_mov_b32 s17, 0x3fe2cf23
	s_mov_b32 s16, s14
	v_add_f64 v[150:151], v[112:113], -v[88:89]
	v_fma_f64 v[144:145], v[140:141], s[14:15], v[148:149]
	v_fma_f64 v[148:149], v[140:141], s[8:9], v[116:117]
	v_add_f64 v[134:135], v[80:81], v[134:135]
	v_fma_f64 v[136:137], v[140:141], s[16:17], v[136:137]
	v_add_f64 v[152:153], v[84:85], -v[80:81]
	v_fma_f64 v[116:117], v[140:141], s[0:1], v[116:117]
	v_add_f64 v[140:141], v[90:91], v[118:119]
	v_fma_f64 v[146:147], v[146:147], -0.5, v[118:119]
	v_add_f64 v[80:81], v[88:89], -v[80:81]
	v_fma_f64 v[88:89], v[138:139], s[14:15], v[148:149]
	v_add_f64 v[148:149], v[82:83], v[90:91]
	s_mov_b32 s6, 0x372fe950
	s_mov_b32 s7, 0x3fd3c6ef
	v_fma_f64 v[144:145], v[142:143], s[6:7], v[144:145]
	v_fma_f64 v[136:137], v[142:143], s[6:7], v[136:137]
	v_add_f64 v[142:143], v[152:153], v[150:151]
	v_fma_f64 v[116:117], v[138:139], s[16:17], v[116:117]
	v_add_f64 v[138:139], v[114:115], v[140:141]
	v_fma_f64 v[140:141], v[80:81], s[8:9], v[146:147]
	v_add_f64 v[84:85], v[112:113], -v[84:85]
	v_fma_f64 v[146:147], v[80:81], s[0:1], v[146:147]
	v_fma_f64 v[118:119], v[148:149], -0.5, v[118:119]
	v_add_f64 v[112:113], v[90:91], -v[114:115]
	v_add_f64 v[150:151], v[82:83], -v[86:87]
	v_fma_f64 v[148:149], v[142:143], s[6:7], v[88:89]
	v_fma_f64 v[142:143], v[142:143], s[6:7], v[116:117]
	v_add_f64 v[88:89], v[86:87], v[138:139]
	v_fma_f64 v[116:117], v[84:85], s[16:17], v[140:141]
	v_add_f64 v[138:139], v[48:49], v[52:53]
	v_fma_f64 v[140:141], v[84:85], s[14:15], v[146:147]
	v_fma_f64 v[146:147], v[84:85], s[0:1], v[118:119]
	v_add_f64 v[90:91], v[114:115], -v[90:91]
	v_add_f64 v[86:87], v[86:87], -v[82:83]
	v_add_f64 v[112:113], v[150:151], v[112:113]
	v_fma_f64 v[84:85], v[84:85], s[8:9], v[118:119]
	v_add_f64 v[114:115], v[76:77], v[56:57]
	v_fma_f64 v[118:119], v[138:139], -0.5, v[56:57]
	s_waitcnt vmcnt(20)
	v_add_f64 v[138:139], v[78:79], -v[42:43]
	v_add_f64 v[150:151], v[82:83], v[88:89]
	v_fma_f64 v[82:83], v[80:81], s[16:17], v[146:147]
	v_add_f64 v[86:87], v[86:87], v[90:91]
	v_fma_f64 v[152:153], v[112:113], s[6:7], v[116:117]
	v_fma_f64 v[140:141], v[112:113], s[6:7], v[140:141]
	;; [unrolled: 1-line block ×3, first 2 shown]
	v_add_f64 v[84:85], v[52:53], v[114:115]
	v_fma_f64 v[88:89], v[138:139], s[0:1], v[118:119]
	v_add_f64 v[90:91], v[54:55], -v[50:51]
	v_add_f64 v[112:113], v[76:77], -v[52:53]
	v_add_f64 v[114:115], v[40:41], -v[48:49]
	v_fma_f64 v[146:147], v[86:87], s[6:7], v[82:83]
	v_add_f64 v[82:83], v[40:41], v[76:77]
	v_add_f64 v[116:117], v[50:51], v[54:55]
	v_fma_f64 v[154:155], v[86:87], s[6:7], v[80:81]
	v_add_f64 v[80:81], v[48:49], v[84:85]
	v_fma_f64 v[84:85], v[90:91], s[14:15], v[88:89]
	v_add_f64 v[86:87], v[42:43], v[78:79]
	v_add_f64 v[88:89], v[114:115], v[112:113]
	v_add_f64 v[114:115], v[76:77], -v[40:41]
	v_fma_f64 v[56:57], v[82:83], -0.5, v[56:57]
	v_fma_f64 v[82:83], v[116:117], -0.5, v[58:59]
	v_add_f64 v[156:157], v[78:79], -v[54:55]
	v_add_f64 v[116:117], v[40:41], v[80:81]
	v_add_f64 v[80:81], v[52:53], -v[48:49]
	v_fma_f64 v[86:87], v[86:87], -0.5, v[58:59]
	v_add_f64 v[52:53], v[52:53], -v[76:77]
	v_add_f64 v[158:159], v[42:43], -v[50:51]
	v_add_f64 v[58:59], v[78:79], v[58:59]
	v_fma_f64 v[76:77], v[114:115], s[8:9], v[82:83]
	v_fma_f64 v[112:113], v[138:139], s[8:9], v[118:119]
	;; [unrolled: 1-line block ×3, first 2 shown]
	v_add_f64 v[162:163], v[54:55], -v[78:79]
	v_fma_f64 v[160:161], v[80:81], s[0:1], v[86:87]
	v_add_f64 v[164:165], v[50:51], -v[42:43]
	v_add_f64 v[40:41], v[48:49], -v[40:41]
	v_fma_f64 v[48:49], v[90:91], s[0:1], v[56:57]
	v_fma_f64 v[56:57], v[80:81], s[8:9], v[86:87]
	;; [unrolled: 1-line block ×3, first 2 shown]
	v_add_f64 v[78:79], v[158:159], v[156:157]
	v_add_f64 v[54:55], v[54:55], v[58:59]
	v_fma_f64 v[58:59], v[114:115], s[0:1], v[82:83]
	v_fma_f64 v[112:113], v[90:91], s[16:17], v[112:113]
	;; [unrolled: 1-line block ×3, first 2 shown]
	v_add_f64 v[90:91], v[164:165], v[162:163]
	v_fma_f64 v[82:83], v[138:139], s[14:15], v[118:119]
	v_fma_f64 v[56:57], v[114:115], s[14:15], v[56:57]
	v_add_f64 v[40:41], v[40:41], v[52:53]
	v_fma_f64 v[48:49], v[138:139], s[16:17], v[48:49]
	v_fma_f64 v[52:53], v[78:79], s[6:7], v[76:77]
	;; [unrolled: 3-line block ×3, first 2 shown]
	v_fma_f64 v[76:77], v[90:91], s[6:7], v[86:87]
	v_fma_f64 v[56:57], v[90:91], s[6:7], v[56:57]
	;; [unrolled: 1-line block ×4, first 2 shown]
	v_mul_f64 v[48:49], v[52:53], s[14:15]
	v_add_f64 v[50:51], v[42:43], v[50:51]
	v_fma_f64 v[42:43], v[78:79], s[6:7], v[54:55]
	s_mov_b32 s18, 0x9b97f4a8
	s_mov_b32 s19, 0x3fe9e377
	;; [unrolled: 1-line block ×6, first 2 shown]
	v_fma_f64 v[58:59], v[88:89], s[6:7], v[112:113]
	v_mul_f64 v[86:87], v[76:77], s[0:1]
	v_mul_f64 v[54:55], v[56:57], s[0:1]
	v_fma_f64 v[78:79], v[84:85], s[18:19], v[48:49]
	v_mul_f64 v[48:49], v[42:43], s[14:15]
	v_mul_f64 v[56:57], v[56:57], s[20:21]
	;; [unrolled: 1-line block ×3, first 2 shown]
	v_add_f64 v[80:81], v[116:117], v[134:135]
	s_waitcnt vmcnt(14)
	v_add_f64 v[162:163], v[74:75], -v[70:71]
	v_fma_f64 v[112:113], v[82:83], s[6:7], v[86:87]
	v_fma_f64 v[114:115], v[40:41], s[20:21], v[54:55]
	v_mul_f64 v[54:55], v[84:85], s[16:17]
	v_mul_f64 v[84:85], v[82:83], s[8:9]
	v_fma_f64 v[138:139], v[58:59], s[22:23], v[48:49]
	v_fma_f64 v[158:159], v[40:41], s[8:9], v[56:57]
	v_fma_f64 v[160:161], v[58:59], s[16:17], v[42:43]
	v_add_f64 v[56:57], v[92:93], v[108:109]
	s_waitcnt vmcnt(13)
	v_add_f64 v[58:59], v[100:101], v[104:105]
	v_add_f64 v[82:83], v[144:145], v[78:79]
	;; [unrolled: 1-line block ×4, first 2 shown]
	v_fma_f64 v[76:77], v[76:77], s[6:7], v[84:85]
	v_add_f64 v[84:85], v[136:137], v[138:139]
	v_add_f64 v[86:87], v[134:135], -v[116:117]
	v_add_f64 v[116:117], v[144:145], -v[78:79]
	;; [unrolled: 1-line block ×3, first 2 shown]
	v_add_f64 v[78:79], v[104:105], v[56:57]
	v_fma_f64 v[134:135], v[58:59], -0.5, v[108:109]
	s_waitcnt vmcnt(11)
	v_add_f64 v[144:145], v[94:95], -v[98:99]
	v_add_f64 v[112:113], v[142:143], -v[114:115]
	;; [unrolled: 1-line block ×3, first 2 shown]
	v_add_f64 v[136:137], v[96:97], v[92:93]
	v_fma_f64 v[156:157], v[52:53], s[18:19], v[54:55]
	v_add_f64 v[40:41], v[50:51], v[150:151]
	v_add_f64 v[52:53], v[146:147], v[76:77]
	v_add_f64 v[50:51], v[150:151], -v[50:51]
	v_add_f64 v[58:59], v[146:147], -v[76:77]
	v_add_f64 v[138:139], v[100:101], v[78:79]
	v_fma_f64 v[142:143], v[144:145], s[0:1], v[134:135]
	v_add_f64 v[146:147], v[106:107], -v[102:103]
	v_add_f64 v[148:149], v[92:93], -v[104:105]
	;; [unrolled: 1-line block ×3, first 2 shown]
	v_fma_f64 v[134:135], v[144:145], s[8:9], v[134:135]
	v_fma_f64 v[108:109], v[136:137], -0.5, v[108:109]
	v_add_f64 v[48:49], v[140:141], v[160:161]
	v_add_f64 v[78:79], v[140:141], -v[160:161]
	v_add_f64 v[136:137], v[96:97], v[138:139]
	v_fma_f64 v[138:139], v[146:147], s[14:15], v[142:143]
	v_add_f64 v[140:141], v[102:103], v[106:107]
	v_add_f64 v[142:143], v[150:151], v[148:149]
	v_fma_f64 v[134:135], v[146:147], s[16:17], v[134:135]
	v_fma_f64 v[148:149], v[146:147], s[8:9], v[108:109]
	v_add_f64 v[42:43], v[152:153], v[156:157]
	v_add_f64 v[56:57], v[152:153], -v[156:157]
	v_add_f64 v[150:151], v[104:105], -v[92:93]
	v_add_f64 v[152:153], v[100:101], -v[96:97]
	v_fma_f64 v[108:109], v[146:147], s[0:1], v[108:109]
	v_add_f64 v[146:147], v[94:95], v[110:111]
	v_fma_f64 v[140:141], v[140:141], -0.5, v[110:111]
	v_add_f64 v[92:93], v[92:93], -v[96:97]
	v_fma_f64 v[96:97], v[142:143], s[6:7], v[138:139]
	v_fma_f64 v[138:139], v[142:143], s[6:7], v[134:135]
	;; [unrolled: 1-line block ×3, first 2 shown]
	v_add_f64 v[148:149], v[98:99], v[94:95]
	v_add_f64 v[142:143], v[152:153], v[150:151]
	v_fma_f64 v[108:109], v[144:145], s[16:17], v[108:109]
	v_add_f64 v[144:145], v[106:107], v[146:147]
	v_fma_f64 v[146:147], v[92:93], s[8:9], v[140:141]
	v_add_f64 v[100:101], v[104:105], -v[100:101]
	v_fma_f64 v[140:141], v[92:93], s[0:1], v[140:141]
	v_add_f64 v[104:105], v[94:95], -v[106:107]
	v_fma_f64 v[110:111], v[148:149], -0.5, v[110:111]
	v_add_f64 v[150:151], v[98:99], -v[102:103]
	v_fma_f64 v[148:149], v[142:143], s[6:7], v[134:135]
	v_fma_f64 v[142:143], v[142:143], s[6:7], v[108:109]
	v_add_f64 v[108:109], v[102:103], v[144:145]
	v_fma_f64 v[134:135], v[100:101], s[16:17], v[146:147]
	v_add_f64 v[144:145], v[60:61], v[72:73]
	v_fma_f64 v[140:141], v[100:101], s[14:15], v[140:141]
	v_fma_f64 v[146:147], v[100:101], s[0:1], v[110:111]
	v_add_f64 v[94:95], v[106:107], -v[94:95]
	v_add_f64 v[102:103], v[102:103], -v[98:99]
	v_fma_f64 v[100:101], v[100:101], s[8:9], v[110:111]
	v_add_f64 v[106:107], v[68:69], v[64:65]
	v_add_f64 v[104:105], v[150:151], v[104:105]
	v_fma_f64 v[110:111], v[144:145], -0.5, v[64:65]
	s_waitcnt vmcnt(10)
	v_add_f64 v[144:145], v[70:71], -v[46:47]
	v_add_f64 v[150:151], v[98:99], v[108:109]
	v_fma_f64 v[98:99], v[92:93], s[16:17], v[146:147]
	v_add_f64 v[94:95], v[102:103], v[94:95]
	v_fma_f64 v[92:93], v[92:93], s[14:15], v[100:101]
	v_add_f64 v[100:101], v[72:73], v[106:107]
	v_add_f64 v[54:55], v[154:155], v[158:159]
	v_add_f64 v[76:77], v[154:155], -v[158:159]
	v_fma_f64 v[152:153], v[104:105], s[6:7], v[134:135]
	v_fma_f64 v[102:103], v[104:105], s[6:7], v[140:141]
	;; [unrolled: 1-line block ×3, first 2 shown]
	v_add_f64 v[106:107], v[74:75], -v[62:63]
	v_add_f64 v[108:109], v[68:69], -v[72:73]
	;; [unrolled: 1-line block ×3, first 2 shown]
	v_fma_f64 v[140:141], v[94:95], s[6:7], v[98:99]
	v_add_f64 v[98:99], v[44:45], v[68:69]
	v_add_f64 v[146:147], v[62:63], v[74:75]
	v_fma_f64 v[154:155], v[94:95], s[6:7], v[92:93]
	v_add_f64 v[92:93], v[60:61], v[100:101]
	v_add_f64 v[100:101], v[46:47], v[70:71]
	v_fma_f64 v[94:95], v[106:107], s[14:15], v[104:105]
	v_add_f64 v[104:105], v[134:135], v[108:109]
	v_fma_f64 v[108:109], v[144:145], s[8:9], v[110:111]
	v_fma_f64 v[64:65], v[98:99], -0.5, v[64:65]
	v_fma_f64 v[98:99], v[146:147], -0.5, v[66:67]
	v_add_f64 v[110:111], v[68:69], -v[44:45]
	v_add_f64 v[134:135], v[72:73], -v[60:61]
	v_fma_f64 v[100:101], v[100:101], -0.5, v[66:67]
	v_add_f64 v[68:69], v[72:73], -v[68:69]
	v_add_f64 v[156:157], v[70:71], -v[74:75]
	;; [unrolled: 1-line block ×4, first 2 shown]
	v_add_f64 v[92:93], v[44:45], v[92:93]
	v_fma_f64 v[72:73], v[110:111], s[8:9], v[98:99]
	v_fma_f64 v[146:147], v[106:107], s[8:9], v[64:65]
	;; [unrolled: 1-line block ×3, first 2 shown]
	v_add_f64 v[44:45], v[60:61], -v[44:45]
	v_add_f64 v[60:61], v[70:71], v[66:67]
	v_fma_f64 v[70:71], v[134:135], s[8:9], v[100:101]
	v_fma_f64 v[64:65], v[106:107], s[0:1], v[64:65]
	;; [unrolled: 1-line block ×5, first 2 shown]
	v_add_f64 v[98:99], v[158:159], v[156:157]
	v_fma_f64 v[100:101], v[110:111], s[16:17], v[160:161]
	v_add_f64 v[156:157], v[164:165], v[162:163]
	v_add_f64 v[60:61], v[74:75], v[60:61]
	v_fma_f64 v[74:75], v[144:145], s[14:15], v[146:147]
	v_fma_f64 v[70:71], v[110:111], s[14:15], v[70:71]
	v_add_f64 v[44:45], v[44:45], v[68:69]
	v_fma_f64 v[72:73], v[134:135], s[14:15], v[72:73]
	v_fma_f64 v[66:67], v[98:99], s[6:7], v[66:67]
	;; [unrolled: 1-line block ×5, first 2 shown]
	v_add_f64 v[60:61], v[62:63], v[60:61]
	v_fma_f64 v[70:71], v[156:157], s[6:7], v[70:71]
	v_fma_f64 v[74:75], v[44:45], s[6:7], v[74:75]
	;; [unrolled: 1-line block ×3, first 2 shown]
	v_mul_f64 v[98:99], v[66:67], s[14:15]
	v_fma_f64 v[62:63], v[104:105], s[6:7], v[108:109]
	v_mul_f64 v[100:101], v[68:69], s[0:1]
	v_fma_f64 v[64:65], v[44:45], s[6:7], v[64:65]
	v_add_f64 v[104:105], v[46:47], v[60:61]
	v_mul_f64 v[46:47], v[70:71], s[0:1]
	v_mul_f64 v[70:71], v[70:71], s[20:21]
	v_mul_f64 v[60:61], v[72:73], s[14:15]
	v_fma_f64 v[98:99], v[94:95], s[18:19], v[98:99]
	v_mul_f64 v[94:95], v[94:95], s[16:17]
	v_fma_f64 v[100:101], v[74:75], s[6:7], v[100:101]
	v_mul_f64 v[74:75], v[74:75], s[8:9]
	s_waitcnt vmcnt(3)
	v_add_f64 v[158:159], v[28:29], v[24:25]
	v_add_f64 v[44:45], v[92:93], v[136:137]
	v_mul_f64 v[72:73], v[72:73], s[22:23]
	v_fma_f64 v[106:107], v[64:65], s[20:21], v[46:47]
	v_fma_f64 v[144:145], v[62:63], s[22:23], v[60:61]
	v_add_f64 v[46:47], v[96:97], v[98:99]
	v_fma_f64 v[146:147], v[66:67], s[18:19], v[94:95]
	v_add_f64 v[60:61], v[148:149], v[100:101]
	v_fma_f64 v[68:69], v[68:69], s[6:7], v[74:75]
	v_fma_f64 v[74:75], v[64:65], s[8:9], v[70:71]
	v_add_f64 v[70:71], v[104:105], v[150:151]
	v_add_f64 v[66:67], v[136:137], -v[92:93]
	v_add_f64 v[93:94], v[96:97], -v[98:99]
	;; [unrolled: 1-line block ×3, first 2 shown]
	v_add_f64 v[148:149], v[20:21], v[36:37]
	v_fma_f64 v[158:159], v[158:159], -0.5, v[36:37]
	s_waitcnt vmcnt(1)
	v_add_f64 v[160:161], v[22:23], -v[34:35]
	v_add_f64 v[136:137], v[150:151], -v[104:105]
	v_add_f64 v[104:105], v[32:33], v[20:21]
	v_fma_f64 v[156:157], v[62:63], s[16:17], v[72:73]
	v_add_f64 v[62:63], v[142:143], v[106:107]
	v_add_f64 v[64:65], v[138:139], v[144:145]
	;; [unrolled: 1-line block ×5, first 2 shown]
	v_add_f64 v[97:98], v[142:143], -v[106:107]
	v_add_f64 v[99:100], v[138:139], -v[144:145]
	;; [unrolled: 1-line block ×4, first 2 shown]
	v_add_f64 v[68:69], v[24:25], v[148:149]
	v_fma_f64 v[106:107], v[160:161], s[0:1], v[158:159]
	v_add_f64 v[146:147], v[26:27], -v[30:31]
	v_add_f64 v[148:149], v[20:21], -v[24:25]
	;; [unrolled: 1-line block ×3, first 2 shown]
	v_fma_f64 v[152:153], v[160:161], s[8:9], v[158:159]
	v_fma_f64 v[36:37], v[104:105], -0.5, v[36:37]
	v_add_f64 v[142:143], v[154:155], -v[74:75]
	v_add_f64 v[74:75], v[30:31], v[26:27]
	v_add_f64 v[134:135], v[102:103], v[156:157]
	v_add_f64 v[144:145], v[102:103], -v[156:157]
	v_add_f64 v[68:69], v[28:29], v[68:69]
	v_fma_f64 v[101:102], v[146:147], s[14:15], v[106:107]
	v_add_f64 v[103:104], v[150:151], v[148:149]
	v_fma_f64 v[105:106], v[146:147], s[16:17], v[152:153]
	v_fma_f64 v[148:149], v[146:147], s[8:9], v[36:37]
	v_add_f64 v[150:151], v[24:25], -v[20:21]
	v_add_f64 v[152:153], v[28:29], -v[32:33]
	v_fma_f64 v[74:75], v[74:75], -0.5, v[38:39]
	v_add_f64 v[20:21], v[20:21], -v[32:33]
	v_add_f64 v[68:69], v[32:33], v[68:69]
	v_fma_f64 v[101:102], v[103:104], s[6:7], v[101:102]
	v_fma_f64 v[103:104], v[103:104], s[6:7], v[105:106]
	;; [unrolled: 1-line block ×4, first 2 shown]
	v_add_f64 v[105:106], v[152:153], v[150:151]
	v_add_f64 v[24:25], v[24:25], -v[28:29]
	v_fma_f64 v[148:149], v[20:21], s[8:9], v[74:75]
	v_add_f64 v[28:29], v[22:23], -v[26:27]
	v_add_f64 v[150:151], v[34:35], -v[30:31]
	v_fma_f64 v[74:75], v[20:21], s[0:1], v[74:75]
	v_add_f64 v[152:153], v[34:35], v[22:23]
	v_add_f64 v[154:155], v[22:23], v[38:39]
	v_fma_f64 v[36:37], v[160:161], s[16:17], v[36:37]
	v_add_f64 v[22:23], v[26:27], -v[22:23]
	v_fma_f64 v[148:149], v[24:25], s[16:17], v[148:149]
	s_waitcnt vmcnt(0)
	v_add_f64 v[156:157], v[0:1], -v[4:5]
	v_add_f64 v[28:29], v[150:151], v[28:29]
	v_fma_f64 v[74:75], v[24:25], s[14:15], v[74:75]
	v_fma_f64 v[38:39], v[152:153], -0.5, v[38:39]
	v_add_f64 v[146:147], v[26:27], v[154:155]
	v_fma_f64 v[154:155], v[105:106], s[6:7], v[32:33]
	v_add_f64 v[32:33], v[4:5], v[8:9]
	v_fma_f64 v[105:106], v[105:106], s[6:7], v[36:37]
	;; [unrolled: 2-line block ×3, first 2 shown]
	v_fma_f64 v[74:75], v[28:29], s[6:7], v[74:75]
	v_fma_f64 v[28:29], v[24:25], s[0:1], v[38:39]
	v_add_f64 v[26:27], v[30:31], -v[34:35]
	v_add_f64 v[146:147], v[30:31], v[146:147]
	v_fma_f64 v[32:33], v[32:33], -0.5, v[16:17]
	v_add_f64 v[150:151], v[14:15], -v[2:3]
	v_fma_f64 v[24:25], v[24:25], s[8:9], v[38:39]
	v_add_f64 v[30:31], v[8:9], v[36:37]
	v_add_f64 v[152:153], v[12:13], -v[8:9]
	v_fma_f64 v[28:29], v[20:21], s[16:17], v[28:29]
	v_add_f64 v[22:23], v[26:27], v[22:23]
	v_add_f64 v[146:147], v[34:35], v[146:147]
	v_add_f64 v[36:37], v[10:11], -v[6:7]
	v_fma_f64 v[34:35], v[150:151], s[0:1], v[32:33]
	v_add_f64 v[38:39], v[0:1], v[12:13]
	v_add_f64 v[158:159], v[6:7], v[10:11]
	v_fma_f64 v[20:21], v[20:21], s[14:15], v[24:25]
	v_add_f64 v[24:25], v[4:5], v[30:31]
	v_add_f64 v[30:31], v[156:157], v[152:153]
	v_fma_f64 v[152:153], v[22:23], s[6:7], v[28:29]
	v_add_f64 v[28:29], v[2:3], v[14:15]
	v_fma_f64 v[26:27], v[36:37], s[14:15], v[34:35]
	v_fma_f64 v[16:17], v[38:39], -0.5, v[16:17]
	v_fma_f64 v[34:35], v[158:159], -0.5, v[18:19]
	v_add_f64 v[38:39], v[12:13], -v[0:1]
	v_add_f64 v[158:159], v[8:9], -v[4:5]
	v_fma_f64 v[20:21], v[22:23], s[6:7], v[20:21]
	v_add_f64 v[22:23], v[0:1], v[24:25]
	v_fma_f64 v[28:29], v[28:29], -0.5, v[18:19]
	v_fma_f64 v[24:25], v[30:31], s[6:7], v[26:27]
	v_add_f64 v[8:9], v[8:9], -v[12:13]
	v_add_f64 v[12:13], v[14:15], -v[10:11]
	v_fma_f64 v[26:27], v[38:39], s[8:9], v[34:35]
	v_add_f64 v[160:161], v[2:3], -v[6:7]
	v_add_f64 v[18:19], v[14:15], v[18:19]
	v_add_f64 v[14:15], v[10:11], -v[14:15]
	v_fma_f64 v[162:163], v[158:159], s[0:1], v[28:29]
	v_add_f64 v[164:165], v[6:7], -v[2:3]
	v_fma_f64 v[28:29], v[158:159], s[8:9], v[28:29]
	v_fma_f64 v[34:35], v[38:39], s[0:1], v[34:35]
	;; [unrolled: 1-line block ×4, first 2 shown]
	v_add_f64 v[12:13], v[160:161], v[12:13]
	v_add_f64 v[0:1], v[4:5], -v[0:1]
	v_fma_f64 v[4:5], v[36:37], s[0:1], v[16:17]
	v_add_f64 v[10:11], v[10:11], v[18:19]
	v_fma_f64 v[16:17], v[38:39], s[16:17], v[162:163]
	v_add_f64 v[14:15], v[164:165], v[14:15]
	v_fma_f64 v[18:19], v[38:39], s[14:15], v[28:29]
	v_fma_f64 v[32:33], v[150:151], s[8:9], v[32:33]
	;; [unrolled: 1-line block ×5, first 2 shown]
	v_add_f64 v[0:1], v[0:1], v[8:9]
	v_fma_f64 v[4:5], v[150:151], s[16:17], v[4:5]
	v_add_f64 v[6:7], v[6:7], v[10:11]
	v_fma_f64 v[10:11], v[14:15], s[6:7], v[16:17]
	v_fma_f64 v[14:15], v[14:15], s[6:7], v[18:19]
	;; [unrolled: 1-line block ×4, first 2 shown]
	v_mul_f64 v[16:17], v[26:27], s[14:15]
	v_fma_f64 v[18:19], v[0:1], s[6:7], v[156:157]
	v_fma_f64 v[4:5], v[0:1], s[6:7], v[4:5]
	v_add_f64 v[38:39], v[2:3], v[6:7]
	v_mul_f64 v[2:3], v[10:11], s[0:1]
	v_mul_f64 v[6:7], v[14:15], s[0:1]
	v_fma_f64 v[8:9], v[30:31], s[6:7], v[32:33]
	v_mul_f64 v[28:29], v[12:13], s[14:15]
	v_mul_f64 v[14:15], v[14:15], s[20:21]
	v_fma_f64 v[16:17], v[24:25], s[18:19], v[16:17]
	v_mul_f64 v[24:25], v[24:25], s[16:17]
	v_mul_f64 v[30:31], v[18:19], s[8:9]
	;; [unrolled: 1-line block ×3, first 2 shown]
	v_fma_f64 v[18:19], v[18:19], s[6:7], v[2:3]
	v_fma_f64 v[150:151], v[4:5], s[20:21], v[6:7]
	v_fma_f64 v[156:157], v[8:9], s[22:23], v[28:29]
	v_fma_f64 v[158:159], v[4:5], s[8:9], v[14:15]
	v_add_f64 v[0:1], v[22:23], v[68:69]
	v_fma_f64 v[24:25], v[26:27], s[18:19], v[24:25]
	v_fma_f64 v[26:27], v[10:11], s[6:7], v[30:31]
	v_fma_f64 v[160:161], v[8:9], s[16:17], v[12:13]
	v_add_f64 v[2:3], v[101:102], v[16:17]
	v_add_f64 v[4:5], v[154:155], v[18:19]
	;; [unrolled: 1-line block ×4, first 2 shown]
	v_add_f64 v[10:11], v[68:69], -v[22:23]
	v_add_f64 v[34:35], v[20:21], v[158:159]
	v_add_f64 v[12:13], v[101:102], -v[16:17]
	v_add_f64 v[14:15], v[154:155], -v[18:19]
	;; [unrolled: 1-line block ×4, first 2 shown]
	v_mul_u32_u24_e32 v20, 10, v124
	v_add_f64 v[28:29], v[38:39], v[146:147]
	v_add_f64 v[30:31], v[148:149], v[24:25]
	;; [unrolled: 1-line block ×4, first 2 shown]
	v_add_f64 v[18:19], v[103:104], -v[156:157]
	v_add_f64 v[38:39], v[146:147], -v[38:39]
	;; [unrolled: 1-line block ×5, first 2 shown]
	v_lshl_add_u32 v74, v20, 3, 0
	v_mul_i32_i24_e32 v20, 10, v129
	v_lshl_add_u32 v92, v20, 3, 0
	v_mul_i32_i24_e32 v20, 10, v132
	s_movk_i32 s0, 0xffb8
	s_load_dwordx2 s[4:5], s[4:5], 0x0
	ds_write_b128 v74, v[80:83]
	ds_write_b128 v74, v[88:91] offset:16
	ds_write_b128 v74, v[84:87] offset:32
	;; [unrolled: 1-line block ×4, first 2 shown]
	ds_write_b128 v92, v[44:47]
	ds_write_b128 v92, v[60:63] offset:16
	ds_write_b128 v92, v[64:67] offset:32
	;; [unrolled: 1-line block ×4, first 2 shown]
	v_lshl_add_u32 v93, v20, 3, 0
	v_mad_i32_i24 v96, v124, s0, v74
	v_add_u32_e32 v94, 0x1800, v96
	v_add_u32_e32 v95, 0x3000, v96
	v_mad_i32_i24 v91, v129, s0, v92
	v_mad_i32_i24 v90, v132, s0, v93
	v_add_u32_e32 v97, 0x1c00, v96
	v_add_u32_e32 v98, 0x3400, v96
	;; [unrolled: 1-line block ×4, first 2 shown]
	v_lshl_add_u32 v100, v126, 3, 0
	v_add_u32_e32 v101, 0x2800, v96
	v_add_u32_e32 v102, 0x4000, v96
	;; [unrolled: 1-line block ×4, first 2 shown]
	s_movk_i32 s0, 0xcd
	ds_write_b128 v93, v[0:3]
	ds_write_b128 v93, v[4:7] offset:16
	ds_write_b128 v93, v[8:11] offset:32
	;; [unrolled: 1-line block ×4, first 2 shown]
	s_waitcnt lgkmcnt(0)
	s_barrier
	ds_read2_b64 v[44:47], v94 offset0:42 offset1:123
	ds_read2_b64 v[60:63], v95 offset0:84 offset1:165
	ds_read_b64 v[24:25], v91
	ds_read_b64 v[22:23], v90
	ds_read2_b64 v[64:67], v97 offset0:76 offset1:157
	ds_read2_b64 v[82:85], v98 offset0:118 offset1:199
	v_lshl_add_u32 v80, v125, 3, 0
	v_lshl_add_u32 v81, v127, 3, 0
	ds_read2_b64 v[86:89], v69 offset0:110 offset1:191
	ds_read2_b64 v[112:115], v68 offset0:152 offset1:233
	v_lshl_add_u32 v99, v131, 3, 0
	ds_read_b64 v[26:27], v96
	ds_read_b64 v[20:21], v80
	;; [unrolled: 1-line block ×4, first 2 shown]
	ds_read2_b64 v[116:119], v101 offset0:16 offset1:97
	ds_read2_b64 v[154:157], v102 offset0:58 offset1:139
	v_lshl_add_u32 v103, v130, 3, 0
	v_lshl_add_u32 v104, v133, 3, 0
	ds_read2_b64 v[4:7], v105 offset0:50 offset1:131
	ds_read2_b64 v[0:3], v106 offset0:92 offset1:173
	v_lshl_add_u32 v107, v128, 3, 0
	ds_read_b64 v[14:15], v100
	ds_read_b64 v[12:13], v103
	;; [unrolled: 1-line block ×4, first 2 shown]
	s_waitcnt lgkmcnt(0)
	s_barrier
	ds_write_b128 v74, v[40:43]
	ds_write_b128 v74, v[52:55] offset:16
	ds_write_b128 v74, v[48:51] offset:32
	ds_write_b128 v74, v[56:59] offset:48
	ds_write_b128 v74, v[76:79] offset:64
	ds_write_b128 v92, v[70:73]
	ds_write_b128 v92, v[108:111] offset:16
	ds_write_b128 v92, v[134:137] offset:32
	ds_write_b128 v92, v[138:141] offset:48
	ds_write_b128 v92, v[142:145] offset:64
	;; [unrolled: 5-line block ×3, first 2 shown]
	v_mul_lo_u16_sdwa v28, v124, s0 dst_sel:DWORD dst_unused:UNUSED_PAD src0_sel:BYTE_0 src1_sel:DWORD
	v_lshrrev_b16_e32 v29, 11, v28
	v_mul_lo_u16_e32 v28, 10, v29
	v_sub_u16_e32 v30, v124, v28
	v_mov_b32_e32 v28, 5
	v_lshlrev_b32_sdwa v31, v28, v30 dst_sel:DWORD dst_unused:UNUSED_PAD src0_sel:DWORD src1_sel:BYTE_0
	s_waitcnt lgkmcnt(0)
	s_barrier
	global_load_dwordx4 v[48:51], v31, s[12:13]
	global_load_dwordx4 v[52:55], v31, s[12:13] offset:16
	v_mul_lo_u16_sdwa v31, v129, s0 dst_sel:DWORD dst_unused:UNUSED_PAD src0_sel:BYTE_0 src1_sel:DWORD
	v_lshrrev_b16_e32 v31, 11, v31
	v_mul_lo_u16_e32 v32, 10, v31
	v_sub_u16_e32 v32, v129, v32
	v_lshlrev_b32_sdwa v33, v28, v32 dst_sel:DWORD dst_unused:UNUSED_PAD src0_sel:DWORD src1_sel:BYTE_0
	global_load_dwordx4 v[56:59], v33, s[12:13]
	global_load_dwordx4 v[70:73], v33, s[12:13] offset:16
	v_mul_lo_u16_sdwa v33, v132, s0 dst_sel:DWORD dst_unused:UNUSED_PAD src0_sel:BYTE_0 src1_sel:DWORD
	v_lshrrev_b16_e32 v33, 11, v33
	v_mul_lo_u16_e32 v34, 10, v33
	v_sub_u16_e32 v34, v132, v34
	v_lshlrev_b32_sdwa v35, v28, v34 dst_sel:DWORD dst_unused:UNUSED_PAD src0_sel:DWORD src1_sel:BYTE_0
	s_mov_b32 s0, 0xcccd
	ds_read2_b64 v[74:77], v94 offset0:42 offset1:123
	ds_read2_b64 v[108:111], v95 offset0:84 offset1:165
	global_load_dwordx4 v[134:137], v35, s[12:13] offset:16
	global_load_dwordx4 v[138:141], v35, s[12:13]
	v_mul_u32_u24_sdwa v35, v125, s0 dst_sel:DWORD dst_unused:UNUSED_PAD src0_sel:WORD_0 src1_sel:DWORD
	v_lshrrev_b32_e32 v35, 19, v35
	v_mul_lo_u16_e32 v36, 10, v35
	v_sub_u16_e32 v36, v125, v36
	v_lshlrev_b32_e32 v37, 5, v36
	global_load_dwordx4 v[142:145], v37, s[12:13] offset:16
	global_load_dwordx4 v[146:149], v37, s[12:13]
	v_mul_u32_u24_sdwa v37, v127, s0 dst_sel:DWORD dst_unused:UNUSED_PAD src0_sel:WORD_0 src1_sel:DWORD
	v_lshrrev_b32_e32 v37, 19, v37
	v_mul_lo_u16_e32 v38, 10, v37
	v_sub_u16_e32 v38, v127, v38
	v_lshlrev_b32_e32 v39, 5, v38
	;; [unrolled: 7-line block ×3, first 2 shown]
	ds_read_b64 v[78:79], v91
	ds_read_b64 v[226:227], v90
	ds_read2_b64 v[162:165], v97 offset0:76 offset1:157
	global_load_dwordx4 v[166:169], v41, s[12:13] offset:16
	global_load_dwordx4 v[170:173], v41, s[12:13]
	v_mul_u32_u24_sdwa v41, v126, s0 dst_sel:DWORD dst_unused:UNUSED_PAD src0_sel:WORD_0 src1_sel:DWORD
	v_lshrrev_b32_e32 v41, 19, v41
	v_mul_lo_u16_e32 v42, 10, v41
	v_sub_u16_e32 v42, v126, v42
	v_lshlrev_b32_e32 v43, 5, v42
	global_load_dwordx4 v[174:177], v43, s[12:13] offset:16
	global_load_dwordx4 v[178:181], v43, s[12:13]
	v_mul_u32_u24_sdwa v43, v130, s0 dst_sel:DWORD dst_unused:UNUSED_PAD src0_sel:WORD_0 src1_sel:DWORD
	v_lshrrev_b32_e32 v244, 19, v43
	v_mul_lo_u16_e32 v43, 10, v244
	v_sub_u16_e32 v245, v130, v43
	v_lshlrev_b32_e32 v43, 5, v245
	ds_read2_b64 v[182:185], v98 offset0:118 offset1:199
	ds_read2_b64 v[186:189], v69 offset0:110 offset1:191
	global_load_dwordx4 v[190:193], v43, s[12:13] offset:16
	global_load_dwordx4 v[194:197], v43, s[12:13]
	v_mul_u32_u24_sdwa v43, v133, s0 dst_sel:DWORD dst_unused:UNUSED_PAD src0_sel:WORD_0 src1_sel:DWORD
	v_lshrrev_b32_e32 v246, 19, v43
	v_mul_lo_u16_e32 v43, 10, v246
	v_sub_u16_e32 v247, v133, v43
	v_lshlrev_b32_e32 v43, 5, v247
	global_load_dwordx4 v[198:201], v43, s[12:13] offset:16
	global_load_dwordx4 v[202:205], v43, s[12:13]
	v_mul_u32_u24_sdwa v43, v128, s0 dst_sel:DWORD dst_unused:UNUSED_PAD src0_sel:WORD_0 src1_sel:DWORD
	v_lshrrev_b32_e32 v248, 19, v43
	v_mul_lo_u16_e32 v43, 10, v248
	v_sub_u16_e32 v249, v128, v43
	v_lshlrev_b32_e32 v43, 5, v249
	ds_read2_b64 v[206:209], v68 offset0:152 offset1:233
	global_load_dwordx4 v[210:213], v43, s[12:13] offset:16
	global_load_dwordx4 v[214:217], v43, s[12:13]
	ds_read_b64 v[230:231], v96
	ds_read_b64 v[232:233], v80
	;; [unrolled: 1-line block ×4, first 2 shown]
	ds_read2_b64 v[218:221], v101 offset0:16 offset1:97
	ds_read2_b64 v[222:225], v102 offset0:58 offset1:139
	s_mov_b32 s6, 0xe8584caa
	s_mov_b32 s7, 0xbfebb67a
	;; [unrolled: 1-line block ×4, first 2 shown]
	s_movk_i32 s0, 0x89
	s_movk_i32 s15, 0x1000
	;; [unrolled: 1-line block ×5, first 2 shown]
	s_waitcnt vmcnt(19) lgkmcnt(13)
	v_mul_f64 v[228:229], v[74:75], v[50:51]
	v_mul_f64 v[50:51], v[44:45], v[50:51]
	s_waitcnt vmcnt(18) lgkmcnt(12)
	v_mul_f64 v[238:239], v[108:109], v[54:55]
	v_mul_f64 v[54:55], v[60:61], v[54:55]
	s_waitcnt vmcnt(16)
	v_mul_f64 v[240:241], v[110:111], v[72:73]
	v_fma_f64 v[43:44], v[44:45], v[48:49], v[228:229]
	v_mul_f64 v[228:229], v[76:77], v[58:59]
	v_mul_f64 v[58:59], v[46:47], v[58:59]
	v_fma_f64 v[60:61], v[60:61], v[52:53], v[238:239]
	v_fma_f64 v[108:109], v[108:109], v[52:53], -v[54:55]
	ds_read2_b64 v[52:55], v106 offset0:92 offset1:173
	v_fma_f64 v[74:75], v[74:75], v[48:49], -v[50:51]
	ds_read2_b64 v[48:51], v105 offset0:50 offset1:131
	v_fma_f64 v[45:46], v[46:47], v[56:57], v[228:229]
	v_fma_f64 v[56:57], v[76:77], v[56:57], -v[58:59]
	v_fma_f64 v[58:59], v[62:63], v[70:71], v[240:241]
	v_mul_f64 v[62:63], v[62:63], v[72:73]
	s_waitcnt vmcnt(14) lgkmcnt(11)
	v_mul_f64 v[72:73], v[162:163], v[140:141]
	v_mul_f64 v[76:77], v[64:65], v[140:141]
	s_waitcnt lgkmcnt(10)
	v_mul_f64 v[140:141], v[182:183], v[136:137]
	ds_read_b64 v[228:229], v100
	ds_read_b64 v[238:239], v103
	;; [unrolled: 1-line block ×4, first 2 shown]
	s_waitcnt vmcnt(0) lgkmcnt(0)
	s_barrier
	v_fma_f64 v[62:63], v[110:111], v[70:71], -v[62:63]
	v_fma_f64 v[64:65], v[64:65], v[138:139], v[72:73]
	v_mul_f64 v[70:71], v[82:83], v[136:137]
	v_fma_f64 v[72:73], v[162:163], v[138:139], -v[76:77]
	v_mul_f64 v[76:77], v[164:165], v[148:149]
	v_mul_f64 v[110:111], v[66:67], v[148:149]
	;; [unrolled: 1-line block ×4, first 2 shown]
	v_fma_f64 v[82:83], v[82:83], v[134:135], v[140:141]
	v_mul_f64 v[140:141], v[186:187], v[160:161]
	v_fma_f64 v[70:71], v[182:183], v[134:135], -v[70:71]
	v_mul_f64 v[134:135], v[86:87], v[160:161]
	v_fma_f64 v[66:67], v[66:67], v[146:147], v[76:77]
	v_fma_f64 v[76:77], v[164:165], v[146:147], -v[110:111]
	v_mul_f64 v[110:111], v[206:207], v[152:153]
	v_fma_f64 v[84:85], v[84:85], v[142:143], v[136:137]
	v_fma_f64 v[136:137], v[184:185], v[142:143], -v[138:139]
	v_mul_f64 v[138:139], v[112:113], v[152:153]
	v_mul_f64 v[146:147], v[218:219], v[180:181]
	;; [unrolled: 1-line block ×3, first 2 shown]
	v_fma_f64 v[86:87], v[86:87], v[158:159], v[140:141]
	v_mul_f64 v[140:141], v[188:189], v[172:173]
	v_mul_f64 v[142:143], v[88:89], v[172:173]
	v_fma_f64 v[110:111], v[112:113], v[150:151], v[110:111]
	v_mul_f64 v[112:113], v[208:209], v[168:169]
	v_fma_f64 v[138:139], v[206:207], v[150:151], -v[138:139]
	v_fma_f64 v[116:117], v[116:117], v[178:179], v[146:147]
	v_fma_f64 v[146:147], v[218:219], v[178:179], -v[148:149]
	v_mul_f64 v[148:149], v[220:221], v[196:197]
	v_mul_f64 v[150:151], v[118:119], v[196:197]
	;; [unrolled: 1-line block ×3, first 2 shown]
	v_fma_f64 v[88:89], v[88:89], v[170:171], v[140:141]
	v_fma_f64 v[140:141], v[188:189], v[170:171], -v[142:143]
	v_mul_f64 v[142:143], v[222:223], v[176:177]
	v_mul_f64 v[152:153], v[224:225], v[192:193]
	v_fma_f64 v[134:135], v[186:187], v[158:159], -v[134:135]
	v_fma_f64 v[118:119], v[118:119], v[194:195], v[148:149]
	v_fma_f64 v[148:149], v[220:221], v[194:195], -v[150:151]
	v_mul_f64 v[150:151], v[52:53], v[200:201]
	v_fma_f64 v[112:113], v[114:115], v[166:167], v[112:113]
	v_fma_f64 v[114:115], v[208:209], v[166:167], -v[144:145]
	v_mul_f64 v[144:145], v[154:155], v[176:177]
	v_fma_f64 v[142:143], v[154:155], v[174:175], v[142:143]
	v_mul_f64 v[154:155], v[156:157], v[192:193]
	v_mul_f64 v[158:159], v[48:49], v[204:205]
	;; [unrolled: 1-line block ×3, first 2 shown]
	v_fma_f64 v[152:153], v[156:157], v[190:191], v[152:153]
	v_mul_f64 v[156:157], v[0:1], v[200:201]
	v_fma_f64 v[0:1], v[0:1], v[198:199], v[150:151]
	v_mul_f64 v[150:151], v[6:7], v[216:217]
	v_mul_f64 v[162:163], v[54:55], v[212:213]
	;; [unrolled: 1-line block ×3, first 2 shown]
	v_fma_f64 v[4:5], v[4:5], v[202:203], v[158:159]
	v_fma_f64 v[47:48], v[48:49], v[202:203], -v[160:161]
	v_mul_f64 v[158:159], v[50:51], v[216:217]
	v_add_f64 v[160:161], v[43:44], v[60:61]
	v_fma_f64 v[52:53], v[52:53], v[198:199], -v[156:157]
	v_fma_f64 v[49:50], v[50:51], v[214:215], -v[150:151]
	v_add_f64 v[150:151], v[74:75], v[108:109]
	v_add_f64 v[156:157], v[26:27], v[43:44]
	v_fma_f64 v[2:3], v[2:3], v[210:211], v[162:163]
	v_add_f64 v[162:163], v[45:46], v[58:59]
	v_fma_f64 v[6:7], v[6:7], v[214:215], v[158:159]
	v_fma_f64 v[26:27], v[160:161], -0.5, v[26:27]
	v_add_f64 v[158:159], v[74:75], -v[108:109]
	v_add_f64 v[74:75], v[230:231], v[74:75]
	v_fma_f64 v[150:151], v[150:151], -0.5, v[230:231]
	v_add_f64 v[43:44], v[43:44], -v[60:61]
	v_add_f64 v[156:157], v[156:157], v[60:61]
	v_add_f64 v[60:61], v[24:25], v[45:46]
	v_fma_f64 v[24:25], v[162:163], -0.5, v[24:25]
	v_add_f64 v[45:46], v[45:46], -v[58:59]
	v_fma_f64 v[160:161], v[158:159], s[6:7], v[26:27]
	v_fma_f64 v[26:27], v[158:159], s[8:9], v[26:27]
	v_add_f64 v[74:75], v[74:75], v[108:109]
	v_add_f64 v[108:109], v[56:57], v[62:63]
	v_add_f64 v[158:159], v[56:57], -v[62:63]
	v_fma_f64 v[162:163], v[43:44], s[8:9], v[150:151]
	v_fma_f64 v[150:151], v[43:44], s[6:7], v[150:151]
	v_add_f64 v[43:44], v[78:79], v[56:57]
	v_add_f64 v[56:57], v[60:61], v[58:59]
	;; [unrolled: 1-line block ×3, first 2 shown]
	v_fma_f64 v[54:55], v[54:55], v[210:211], -v[164:165]
	v_fma_f64 v[78:79], v[108:109], -0.5, v[78:79]
	v_fma_f64 v[58:59], v[158:159], s[6:7], v[24:25]
	v_fma_f64 v[24:25], v[158:159], s[8:9], v[24:25]
	v_add_f64 v[108:109], v[22:23], v[64:65]
	v_add_f64 v[158:159], v[43:44], v[62:63]
	;; [unrolled: 1-line block ×3, first 2 shown]
	v_fma_f64 v[22:23], v[60:61], -0.5, v[22:23]
	v_add_f64 v[60:61], v[72:73], -v[70:71]
	v_fma_f64 v[164:165], v[45:46], s[8:9], v[78:79]
	v_fma_f64 v[78:79], v[45:46], s[6:7], v[78:79]
	v_add_f64 v[45:46], v[226:227], v[72:73]
	v_add_f64 v[72:73], v[66:67], v[84:85]
	v_add_f64 v[64:65], v[64:65], -v[82:83]
	v_fma_f64 v[43:44], v[43:44], -0.5, v[226:227]
	v_add_f64 v[62:63], v[108:109], v[82:83]
	v_fma_f64 v[82:83], v[60:61], s[6:7], v[22:23]
	v_fma_f64 v[22:23], v[60:61], s[8:9], v[22:23]
	v_add_f64 v[60:61], v[20:21], v[66:67]
	v_add_f64 v[108:109], v[45:46], v[70:71]
	;; [unrolled: 1-line block ×3, first 2 shown]
	v_fma_f64 v[20:21], v[72:73], -0.5, v[20:21]
	v_add_f64 v[70:71], v[76:77], -v[136:137]
	v_fma_f64 v[166:167], v[64:65], s[8:9], v[43:44]
	v_fma_f64 v[168:169], v[64:65], s[6:7], v[43:44]
	v_add_f64 v[43:44], v[232:233], v[76:77]
	v_add_f64 v[64:65], v[86:87], v[110:111]
	v_add_f64 v[66:67], v[66:67], -v[84:85]
	v_fma_f64 v[45:46], v[45:46], -0.5, v[232:233]
	v_add_f64 v[60:61], v[60:61], v[84:85]
	v_fma_f64 v[72:73], v[70:71], s[6:7], v[20:21]
	v_fma_f64 v[20:21], v[70:71], s[8:9], v[20:21]
	v_add_f64 v[70:71], v[18:19], v[86:87]
	v_add_f64 v[76:77], v[43:44], v[136:137]
	;; [unrolled: 1-line block ×3, first 2 shown]
	v_fma_f64 v[18:19], v[64:65], -0.5, v[18:19]
	v_add_f64 v[64:65], v[134:135], -v[138:139]
	v_fma_f64 v[84:85], v[66:67], s[8:9], v[45:46]
	v_fma_f64 v[136:137], v[66:67], s[6:7], v[45:46]
	v_add_f64 v[45:46], v[234:235], v[134:135]
	v_add_f64 v[66:67], v[70:71], v[110:111]
	;; [unrolled: 1-line block ×3, first 2 shown]
	v_fma_f64 v[43:44], v[43:44], -0.5, v[234:235]
	v_add_f64 v[86:87], v[86:87], -v[110:111]
	v_fma_f64 v[110:111], v[64:65], s[6:7], v[18:19]
	v_fma_f64 v[64:65], v[64:65], s[8:9], v[18:19]
	v_add_f64 v[18:19], v[16:17], v[88:89]
	v_fma_f64 v[144:145], v[222:223], v[174:175], -v[144:145]
	v_add_f64 v[134:135], v[45:46], v[138:139]
	v_add_f64 v[45:46], v[140:141], v[114:115]
	v_fma_f64 v[16:17], v[70:71], -0.5, v[16:17]
	v_add_f64 v[70:71], v[140:141], -v[114:115]
	v_fma_f64 v[138:139], v[86:87], s[8:9], v[43:44]
	v_fma_f64 v[86:87], v[86:87], s[6:7], v[43:44]
	v_add_f64 v[43:44], v[236:237], v[140:141]
	v_add_f64 v[140:141], v[18:19], v[112:113]
	;; [unrolled: 1-line block ×3, first 2 shown]
	v_fma_f64 v[154:155], v[224:225], v[190:191], -v[154:155]
	v_fma_f64 v[45:46], v[45:46], -0.5, v[236:237]
	v_add_f64 v[88:89], v[88:89], -v[112:113]
	v_fma_f64 v[112:113], v[70:71], s[6:7], v[16:17]
	v_fma_f64 v[16:17], v[70:71], s[8:9], v[16:17]
	v_add_f64 v[70:71], v[14:15], v[116:117]
	v_add_f64 v[114:115], v[43:44], v[114:115]
	;; [unrolled: 1-line block ×3, first 2 shown]
	v_fma_f64 v[14:15], v[18:19], -0.5, v[14:15]
	v_add_f64 v[18:19], v[146:147], -v[144:145]
	v_add_f64 v[146:147], v[228:229], v[146:147]
	v_fma_f64 v[170:171], v[88:89], s[8:9], v[45:46]
	v_fma_f64 v[88:89], v[88:89], s[6:7], v[45:46]
	v_add_f64 v[45:46], v[70:71], v[142:143]
	v_add_f64 v[116:117], v[116:117], -v[142:143]
	v_fma_f64 v[43:44], v[43:44], -0.5, v[228:229]
	v_add_f64 v[70:71], v[118:119], v[152:153]
	v_fma_f64 v[142:143], v[18:19], s[6:7], v[14:15]
	v_fma_f64 v[14:15], v[18:19], s[8:9], v[14:15]
	v_add_f64 v[18:19], v[148:149], v[154:155]
	v_add_f64 v[144:145], v[146:147], v[144:145]
	;; [unrolled: 1-line block ×4, first 2 shown]
	v_fma_f64 v[172:173], v[116:117], s[8:9], v[43:44]
	v_fma_f64 v[116:117], v[116:117], s[6:7], v[43:44]
	v_add_f64 v[43:44], v[238:239], v[148:149]
	v_add_f64 v[118:119], v[118:119], -v[152:153]
	v_fma_f64 v[18:19], v[18:19], -0.5, v[238:239]
	v_fma_f64 v[12:13], v[70:71], -0.5, v[12:13]
	v_add_f64 v[70:71], v[148:149], -v[154:155]
	v_add_f64 v[146:147], v[146:147], v[152:153]
	v_add_f64 v[152:153], v[10:11], v[4:5]
	v_fma_f64 v[10:11], v[174:175], -0.5, v[10:11]
	v_add_f64 v[174:175], v[47:48], -v[52:53]
	v_add_f64 v[154:155], v[43:44], v[154:155]
	v_fma_f64 v[176:177], v[118:119], s[8:9], v[18:19]
	v_add_f64 v[43:44], v[47:48], v[52:53]
	v_fma_f64 v[118:119], v[118:119], s[6:7], v[18:19]
	;; [unrolled: 2-line block ×3, first 2 shown]
	v_fma_f64 v[12:13], v[70:71], s[8:9], v[12:13]
	v_add_f64 v[70:71], v[152:153], v[0:1]
	v_fma_f64 v[152:153], v[174:175], s[6:7], v[10:11]
	v_fma_f64 v[10:11], v[174:175], s[8:9], v[10:11]
	v_add_f64 v[174:175], v[49:50], v[54:55]
	v_fma_f64 v[43:44], v[43:44], -0.5, v[240:241]
	v_add_f64 v[0:1], v[4:5], -v[0:1]
	v_add_f64 v[4:5], v[8:9], v[6:7]
	v_fma_f64 v[8:9], v[18:19], -0.5, v[8:9]
	v_add_f64 v[18:19], v[49:50], -v[54:55]
	v_add_f64 v[6:7], v[6:7], -v[2:3]
	v_add_f64 v[47:48], v[240:241], v[47:48]
	v_fma_f64 v[174:175], v[174:175], -0.5, v[242:243]
	v_add_f64 v[49:50], v[242:243], v[49:50]
	v_fma_f64 v[180:181], v[0:1], s[8:9], v[43:44]
	v_fma_f64 v[182:183], v[0:1], s[6:7], v[43:44]
	v_add_f64 v[0:1], v[4:5], v[2:3]
	v_fma_f64 v[2:3], v[18:19], s[6:7], v[8:9]
	v_fma_f64 v[4:5], v[18:19], s[8:9], v[8:9]
	v_mov_b32_e32 v18, 3
	v_fma_f64 v[186:187], v[6:7], s[8:9], v[174:175]
	v_fma_f64 v[174:175], v[6:7], s[6:7], v[174:175]
	v_mul_u32_u24_e32 v6, 0xf0, v29
	v_lshlrev_b32_sdwa v7, v18, v30 dst_sel:DWORD dst_unused:UNUSED_PAD src0_sel:DWORD src1_sel:BYTE_0
	v_add3_u32 v19, 0, v6, v7
	v_mul_u32_u24_e32 v6, 0xf0, v31
	v_lshlrev_b32_sdwa v7, v18, v32 dst_sel:DWORD dst_unused:UNUSED_PAD src0_sel:DWORD src1_sel:BYTE_0
	ds_write2_b64 v19, v[156:157], v[160:161] offset1:10
	ds_write_b64 v19, v[26:27] offset:160
	v_add3_u32 v26, 0, v6, v7
	v_mul_u32_u24_e32 v6, 0xf0, v33
	v_lshlrev_b32_sdwa v7, v18, v34 dst_sel:DWORD dst_unused:UNUSED_PAD src0_sel:DWORD src1_sel:BYTE_0
	ds_write2_b64 v26, v[56:57], v[58:59] offset1:10
	ds_write_b64 v26, v[24:25] offset:160
	v_add3_u32 v24, 0, v6, v7
	v_mul_u32_u24_e32 v6, 0xf0, v35
	v_lshlrev_b32_e32 v7, 3, v36
	ds_write2_b64 v24, v[62:63], v[82:83] offset1:10
	ds_write_b64 v24, v[22:23] offset:160
	v_add3_u32 v22, 0, v6, v7
	v_mul_u32_u24_e32 v6, 0xf0, v37
	v_lshlrev_b32_e32 v7, 3, v38
	;; [unrolled: 5-line block ×3, first 2 shown]
	v_add3_u32 v21, 0, v6, v7
	v_mul_u32_u24_e32 v6, 0xf0, v41
	v_lshlrev_b32_e32 v7, 3, v42
	v_add3_u32 v23, 0, v6, v7
	v_mul_u32_u24_e32 v6, 0xf0, v244
	v_lshlrev_b32_e32 v7, 3, v245
	;; [unrolled: 3-line block ×4, first 2 shown]
	v_add3_u32 v29, 0, v6, v7
	v_add_f64 v[178:179], v[47:48], v[52:53]
	v_add_f64 v[184:185], v[49:50], v[54:55]
	ds_write2_b64 v20, v[66:67], v[110:111] offset1:10
	ds_write_b64 v20, v[64:65] offset:160
	ds_write2_b64 v21, v[140:141], v[112:113] offset1:10
	ds_write_b64 v21, v[16:17] offset:160
	;; [unrolled: 2-line block ×6, first 2 shown]
	s_waitcnt lgkmcnt(0)
	s_barrier
	ds_read2_b64 v[32:35], v94 offset0:42 offset1:123
	ds_read2_b64 v[36:39], v95 offset0:84 offset1:165
	ds_read_b64 v[16:17], v91
	ds_read_b64 v[14:15], v90
	ds_read2_b64 v[40:43], v97 offset0:76 offset1:157
	ds_read2_b64 v[44:47], v98 offset0:118 offset1:199
	;; [unrolled: 1-line block ×4, first 2 shown]
	ds_read_b64 v[218:219], v96
	ds_read_b64 v[12:13], v80
	;; [unrolled: 1-line block ×4, first 2 shown]
	ds_read2_b64 v[56:59], v101 offset0:16 offset1:97
	ds_read2_b64 v[60:63], v102 offset0:58 offset1:139
	;; [unrolled: 1-line block ×4, first 2 shown]
	ds_read_b64 v[6:7], v100
	ds_read_b64 v[4:5], v103
	;; [unrolled: 1-line block ×4, first 2 shown]
	s_waitcnt lgkmcnt(0)
	s_barrier
	ds_write2_b64 v19, v[74:75], v[162:163] offset1:10
	ds_write_b64 v19, v[150:151] offset:160
	ds_write2_b64 v26, v[158:159], v[164:165] offset1:10
	ds_write_b64 v26, v[78:79] offset:160
	;; [unrolled: 2-line block ×10, first 2 shown]
	v_mul_lo_u16_sdwa v19, v124, s0 dst_sel:DWORD dst_unused:UNUSED_PAD src0_sel:BYTE_0 src1_sel:DWORD
	v_lshrrev_b16_e32 v19, 12, v19
	v_mul_lo_u16_e32 v20, 30, v19
	v_sub_u16_e32 v20, v124, v20
	v_lshlrev_b32_sdwa v21, v28, v20 dst_sel:DWORD dst_unused:UNUSED_PAD src0_sel:DWORD src1_sel:BYTE_0
	s_waitcnt lgkmcnt(0)
	s_barrier
	global_load_dwordx4 v[74:77], v21, s[12:13] offset:320
	global_load_dwordx4 v[82:85], v21, s[12:13] offset:336
	v_mul_lo_u16_sdwa v21, v129, s0 dst_sel:DWORD dst_unused:UNUSED_PAD src0_sel:BYTE_0 src1_sel:DWORD
	v_lshrrev_b16_e32 v21, 12, v21
	v_mul_lo_u16_e32 v22, 30, v21
	v_sub_u16_e32 v22, v129, v22
	v_lshlrev_b32_sdwa v23, v28, v22 dst_sel:DWORD dst_unused:UNUSED_PAD src0_sel:DWORD src1_sel:BYTE_0
	global_load_dwordx4 v[86:89], v23, s[12:13] offset:320
	global_load_dwordx4 v[108:111], v23, s[12:13] offset:336
	v_mul_lo_u16_sdwa v23, v132, s0 dst_sel:DWORD dst_unused:UNUSED_PAD src0_sel:BYTE_0 src1_sel:DWORD
	v_lshrrev_b16_e32 v23, 12, v23
	v_mul_lo_u16_e32 v24, 30, v23
	v_sub_u16_e32 v24, v132, v24
	v_lshlrev_b32_sdwa v25, v28, v24 dst_sel:DWORD dst_unused:UNUSED_PAD src0_sel:DWORD src1_sel:BYTE_0
	ds_read2_b64 v[112:115], v94 offset0:42 offset1:123
	ds_read2_b64 v[116:119], v95 offset0:84 offset1:165
	global_load_dwordx4 v[134:137], v25, s[12:13] offset:336
	global_load_dwordx4 v[138:141], v25, s[12:13] offset:320
	s_mov_b32 s0, 0x8889
	v_mul_u32_u24_sdwa v25, v125, s0 dst_sel:DWORD dst_unused:UNUSED_PAD src0_sel:WORD_0 src1_sel:DWORD
	v_lshrrev_b32_e32 v25, 20, v25
	v_mul_lo_u16_e32 v26, 30, v25
	v_sub_u16_e32 v26, v125, v26
	v_lshlrev_b32_e32 v27, 5, v26
	ds_read_b64 v[220:221], v91
	ds_read_b64 v[222:223], v90
	global_load_dwordx4 v[142:145], v27, s[12:13] offset:336
	global_load_dwordx4 v[146:149], v27, s[12:13] offset:320
	v_mul_u32_u24_sdwa v27, v127, s0 dst_sel:DWORD dst_unused:UNUSED_PAD src0_sel:WORD_0 src1_sel:DWORD
	v_lshrrev_b32_e32 v27, 20, v27
	v_mul_lo_u16_e32 v29, 30, v27
	v_sub_u16_e32 v29, v127, v29
	v_lshlrev_b32_e32 v30, 5, v29
	global_load_dwordx4 v[150:153], v30, s[12:13] offset:336
	global_load_dwordx4 v[154:157], v30, s[12:13] offset:320
	v_mul_u32_u24_sdwa v30, v131, s0 dst_sel:DWORD dst_unused:UNUSED_PAD src0_sel:WORD_0 src1_sel:DWORD
	v_lshrrev_b32_e32 v30, 20, v30
	v_mul_lo_u16_e32 v31, 30, v30
	v_sub_u16_e32 v31, v131, v31
	v_lshlrev_b32_e32 v78, 5, v31
	ds_read2_b64 v[158:161], v97 offset0:76 offset1:157
	ds_read2_b64 v[162:165], v98 offset0:118 offset1:199
	global_load_dwordx4 v[166:169], v78, s[12:13] offset:336
	global_load_dwordx4 v[170:173], v78, s[12:13] offset:320
	v_mul_u32_u24_sdwa v78, v126, s0 dst_sel:DWORD dst_unused:UNUSED_PAD src0_sel:WORD_0 src1_sel:DWORD
	v_lshrrev_b32_e32 v238, 20, v78
	v_mul_lo_u16_e32 v78, 30, v238
	v_sub_u16_e32 v239, v126, v78
	v_lshlrev_b32_e32 v78, 5, v239
	global_load_dwordx4 v[174:177], v78, s[12:13] offset:336
	global_load_dwordx4 v[178:181], v78, s[12:13] offset:320
	v_mul_u32_u24_sdwa v78, v130, s0 dst_sel:DWORD dst_unused:UNUSED_PAD src0_sel:WORD_0 src1_sel:DWORD
	v_lshrrev_b32_e32 v240, 20, v78
	v_mul_lo_u16_e32 v78, 30, v240
	v_sub_u16_e32 v241, v130, v78
	v_lshlrev_b32_e32 v78, 5, v241
	ds_read2_b64 v[182:185], v69 offset0:110 offset1:191
	ds_read2_b64 v[186:189], v68 offset0:152 offset1:233
	global_load_dwordx4 v[190:193], v78, s[12:13] offset:336
	global_load_dwordx4 v[194:197], v78, s[12:13] offset:320
	v_mul_u32_u24_sdwa v78, v133, s0 dst_sel:DWORD dst_unused:UNUSED_PAD src0_sel:WORD_0 src1_sel:DWORD
	v_lshrrev_b32_e32 v242, 20, v78
	v_mul_lo_u16_e32 v78, 30, v242
	v_sub_u16_e32 v243, v133, v78
	v_lshlrev_b32_e32 v78, 5, v243
	global_load_dwordx4 v[198:201], v78, s[12:13] offset:336
	global_load_dwordx4 v[202:205], v78, s[12:13] offset:320
	v_mul_u32_u24_e32 v19, 0x2d0, v19
	v_lshlrev_b32_sdwa v20, v18, v20 dst_sel:DWORD dst_unused:UNUSED_PAD src0_sel:DWORD src1_sel:BYTE_0
	v_add3_u32 v19, 0, v19, v20
	v_mul_u32_u24_e32 v20, 0x2d0, v21
	v_lshlrev_b32_sdwa v21, v18, v22 dst_sel:DWORD dst_unused:UNUSED_PAD src0_sel:DWORD src1_sel:BYTE_0
	v_add3_u32 v20, 0, v20, v21
	s_waitcnt vmcnt(17) lgkmcnt(7)
	v_mul_f64 v[224:225], v[112:113], v[76:77]
	v_mul_f64 v[226:227], v[32:33], v[76:77]
	v_mul_u32_u24_sdwa v76, v128, s0 dst_sel:DWORD dst_unused:UNUSED_PAD src0_sel:WORD_0 src1_sel:DWORD
	v_lshrrev_b32_e32 v244, 20, v76
	v_mul_lo_u16_e32 v76, 30, v244
	v_sub_u16_e32 v245, v128, v76
	v_lshlrev_b32_e32 v206, 5, v245
	global_load_dwordx4 v[76:79], v206, s[12:13] offset:336
	s_nop 0
	global_load_dwordx4 v[206:209], v206, s[12:13] offset:320
	v_fma_f64 v[224:225], v[32:33], v[74:75], v[224:225]
	s_waitcnt vmcnt(17)
	v_mul_f64 v[32:33], v[114:115], v[88:89]
	v_fma_f64 v[74:75], v[112:113], v[74:75], -v[226:227]
	v_mul_f64 v[88:89], v[34:35], v[88:89]
	s_waitcnt vmcnt(16) lgkmcnt(6)
	v_mul_f64 v[112:113], v[118:119], v[110:111]
	v_mul_f64 v[110:111], v[38:39], v[110:111]
	ds_read_b64 v[228:229], v96
	ds_read_b64 v[230:231], v80
	;; [unrolled: 1-line block ×4, first 2 shown]
	ds_read2_b64 v[210:213], v101 offset0:16 offset1:97
	ds_read2_b64 v[214:217], v102 offset0:58 offset1:139
	v_mul_f64 v[236:237], v[116:117], v[84:85]
	v_mul_f64 v[84:85], v[36:37], v[84:85]
	v_fma_f64 v[226:227], v[34:35], v[86:87], v[32:33]
	ds_read2_b64 v[32:35], v106 offset0:92 offset1:173
	v_fma_f64 v[86:87], v[114:115], v[86:87], -v[88:89]
	v_fma_f64 v[38:39], v[38:39], v[108:109], v[112:113]
	v_fma_f64 v[88:89], v[118:119], v[108:109], -v[110:111]
	s_waitcnt vmcnt(14) lgkmcnt(10)
	v_mul_f64 v[108:109], v[158:159], v[140:141]
	v_mul_f64 v[110:111], v[40:41], v[140:141]
	s_waitcnt lgkmcnt(9)
	v_mul_f64 v[112:113], v[162:163], v[136:137]
	v_mul_f64 v[114:115], v[44:45], v[136:137]
	v_fma_f64 v[36:37], v[36:37], v[82:83], v[236:237]
	v_fma_f64 v[116:117], v[116:117], v[82:83], -v[84:85]
	ds_read2_b64 v[82:85], v105 offset0:50 offset1:131
	ds_read_b64 v[118:119], v100
	ds_read_b64 v[136:137], v103
	;; [unrolled: 1-line block ×4, first 2 shown]
	v_fma_f64 v[40:41], v[40:41], v[138:139], v[108:109]
	s_waitcnt vmcnt(12)
	v_mul_f64 v[108:109], v[160:161], v[148:149]
	v_fma_f64 v[110:111], v[158:159], v[138:139], -v[110:111]
	v_mul_f64 v[138:139], v[42:43], v[148:149]
	v_fma_f64 v[44:45], v[44:45], v[134:135], v[112:113]
	v_mul_f64 v[112:113], v[164:165], v[144:145]
	v_fma_f64 v[114:115], v[162:163], v[134:135], -v[114:115]
	v_mul_f64 v[134:135], v[46:47], v[144:145]
	s_waitcnt vmcnt(10) lgkmcnt(13)
	v_mul_f64 v[144:145], v[182:183], v[156:157]
	v_fma_f64 v[42:43], v[42:43], v[146:147], v[108:109]
	v_mul_f64 v[108:109], v[48:49], v[156:157]
	v_fma_f64 v[138:139], v[160:161], v[146:147], -v[138:139]
	s_waitcnt lgkmcnt(12)
	v_mul_f64 v[146:147], v[186:187], v[152:153]
	v_fma_f64 v[46:47], v[46:47], v[142:143], v[112:113]
	v_mul_f64 v[112:113], v[52:53], v[152:153]
	v_fma_f64 v[134:135], v[164:165], v[142:143], -v[134:135]
	s_waitcnt vmcnt(8)
	v_mul_f64 v[142:143], v[184:185], v[172:173]
	s_waitcnt vmcnt(7) lgkmcnt(6)
	v_mul_f64 v[152:153], v[214:215], v[176:177]
	v_fma_f64 v[48:49], v[48:49], v[154:155], v[144:145]
	v_mul_f64 v[144:145], v[50:51], v[172:173]
	v_fma_f64 v[52:53], v[52:53], v[150:151], v[146:147]
	v_mul_f64 v[146:147], v[188:189], v[168:169]
	v_fma_f64 v[112:113], v[186:187], v[150:151], -v[112:113]
	s_waitcnt vmcnt(6)
	v_mul_f64 v[150:151], v[210:211], v[180:181]
	v_mul_f64 v[148:149], v[54:55], v[168:169]
	v_fma_f64 v[50:51], v[50:51], v[170:171], v[142:143]
	v_mul_f64 v[142:143], v[56:57], v[180:181]
	v_fma_f64 v[108:109], v[182:183], v[154:155], -v[108:109]
	s_waitcnt vmcnt(4)
	v_mul_f64 v[154:155], v[58:59], v[196:197]
	v_fma_f64 v[54:55], v[54:55], v[166:167], v[146:147]
	v_mul_f64 v[146:147], v[60:61], v[176:177]
	v_fma_f64 v[56:57], v[56:57], v[178:179], v[150:151]
	;; [unrolled: 2-line block ×3, first 2 shown]
	v_mul_f64 v[152:153], v[216:217], v[192:193]
	v_mul_f64 v[156:157], v[62:63], v[192:193]
	s_waitcnt vmcnt(2) lgkmcnt(4)
	v_mul_f64 v[158:159], v[82:83], v[204:205]
	v_mul_f64 v[160:161], v[32:33], v[200:201]
	v_add_f64 v[162:163], v[74:75], -v[116:117]
	v_fma_f64 v[148:149], v[188:189], v[166:167], -v[148:149]
	v_fma_f64 v[58:59], v[58:59], v[194:195], v[150:151]
	v_mul_f64 v[150:151], v[64:65], v[204:205]
	v_fma_f64 v[62:63], v[62:63], v[190:191], v[152:153]
	v_mul_f64 v[152:153], v[70:71], v[200:201]
	v_fma_f64 v[64:65], v[64:65], v[202:203], v[158:159]
	v_fma_f64 v[70:71], v[70:71], v[198:199], v[160:161]
	v_add_f64 v[160:161], v[224:225], v[36:37]
	v_fma_f64 v[144:145], v[184:185], v[170:171], -v[144:145]
	v_fma_f64 v[142:143], v[210:211], v[178:179], -v[142:143]
	;; [unrolled: 1-line block ×7, first 2 shown]
	v_fma_f64 v[160:161], v[160:161], -0.5, v[218:219]
	s_waitcnt vmcnt(1) lgkmcnt(0)
	v_mul_f64 v[152:153], v[34:35], v[78:79]
	s_waitcnt vmcnt(0)
	v_mul_f64 v[158:159], v[84:85], v[208:209]
	v_mul_f64 v[150:151], v[66:67], v[208:209]
	;; [unrolled: 1-line block ×3, first 2 shown]
	s_barrier
	v_fma_f64 v[72:73], v[72:73], v[76:77], v[152:153]
	v_fma_f64 v[66:67], v[66:67], v[206:207], v[158:159]
	v_add_f64 v[158:159], v[218:219], v[224:225]
	v_fma_f64 v[84:85], v[84:85], v[206:207], -v[150:151]
	v_add_f64 v[150:151], v[74:75], v[116:117]
	v_fma_f64 v[34:35], v[34:35], v[76:77], -v[78:79]
	v_add_f64 v[74:75], v[228:229], v[74:75]
	v_add_f64 v[78:79], v[226:227], v[38:39]
	v_fma_f64 v[152:153], v[162:163], s[6:7], v[160:161]
	v_add_f64 v[76:77], v[158:159], v[36:37]
	v_add_f64 v[36:37], v[224:225], -v[36:37]
	v_fma_f64 v[150:151], v[150:151], -0.5, v[228:229]
	v_fma_f64 v[158:159], v[162:163], s[8:9], v[160:161]
	v_add_f64 v[160:161], v[16:17], v[226:227]
	v_add_f64 v[116:117], v[74:75], v[116:117]
	v_add_f64 v[74:75], v[86:87], v[88:89]
	v_fma_f64 v[16:17], v[78:79], -0.5, v[16:17]
	v_add_f64 v[78:79], v[86:87], -v[88:89]
	v_add_f64 v[86:87], v[220:221], v[86:87]
	v_fma_f64 v[162:163], v[36:37], s[8:9], v[150:151]
	v_fma_f64 v[36:37], v[36:37], s[6:7], v[150:151]
	v_add_f64 v[150:151], v[160:161], v[38:39]
	v_add_f64 v[160:161], v[40:41], v[44:45]
	v_fma_f64 v[74:75], v[74:75], -0.5, v[220:221]
	v_add_f64 v[38:39], v[226:227], -v[38:39]
	v_fma_f64 v[164:165], v[78:79], s[6:7], v[16:17]
	v_fma_f64 v[16:17], v[78:79], s[8:9], v[16:17]
	v_add_f64 v[78:79], v[14:15], v[40:41]
	v_add_f64 v[86:87], v[86:87], v[88:89]
	v_add_f64 v[88:89], v[110:111], v[114:115]
	v_fma_f64 v[14:15], v[160:161], -0.5, v[14:15]
	v_add_f64 v[160:161], v[110:111], -v[114:115]
	v_fma_f64 v[166:167], v[38:39], s[8:9], v[74:75]
	v_fma_f64 v[168:169], v[38:39], s[6:7], v[74:75]
	v_add_f64 v[38:39], v[222:223], v[110:111]
	;; [unrolled: 7-line block ×9, first 2 shown]
	v_add_f64 v[144:145], v[40:41], v[148:149]
	v_add_f64 v[40:41], v[142:143], v[146:147]
	v_fma_f64 v[6:7], v[108:109], -0.5, v[6:7]
	v_add_f64 v[108:109], v[142:143], -v[146:147]
	v_fma_f64 v[148:149], v[50:51], s[8:9], v[38:39]
	v_add_f64 v[142:143], v[118:119], v[142:143]
	v_fma_f64 v[176:177], v[50:51], s[6:7], v[38:39]
	v_add_f64 v[38:39], v[78:79], v[60:61]
	v_add_f64 v[56:57], v[56:57], -v[60:61]
	v_fma_f64 v[40:41], v[40:41], -0.5, v[118:119]
	v_add_f64 v[78:79], v[154:155], v[156:157]
	v_add_f64 v[50:51], v[58:59], v[62:63]
	v_fma_f64 v[60:61], v[108:109], s[6:7], v[6:7]
	v_fma_f64 v[6:7], v[108:109], s[8:9], v[6:7]
	v_add_f64 v[108:109], v[142:143], v[146:147]
	v_add_f64 v[118:119], v[4:5], v[58:59]
	;; [unrolled: 1-line block ×3, first 2 shown]
	v_fma_f64 v[142:143], v[56:57], s[8:9], v[40:41]
	v_fma_f64 v[178:179], v[56:57], s[6:7], v[40:41]
	v_add_f64 v[40:41], v[136:137], v[154:155]
	v_fma_f64 v[56:57], v[78:79], -0.5, v[136:137]
	v_add_f64 v[58:59], v[58:59], -v[62:63]
	v_fma_f64 v[4:5], v[50:51], -0.5, v[4:5]
	v_add_f64 v[50:51], v[154:155], -v[156:157]
	v_add_f64 v[62:63], v[118:119], v[62:63]
	v_add_f64 v[118:119], v[2:3], v[64:65]
	v_fma_f64 v[2:3], v[146:147], -0.5, v[2:3]
	v_add_f64 v[136:137], v[82:83], -v[32:33]
	v_add_f64 v[146:147], v[40:41], v[156:157]
	v_fma_f64 v[154:155], v[58:59], s[8:9], v[56:57]
	v_add_f64 v[40:41], v[82:83], v[32:33]
	v_fma_f64 v[58:59], v[58:59], s[6:7], v[56:57]
	;; [unrolled: 2-line block ×3, first 2 shown]
	v_fma_f64 v[4:5], v[50:51], s[8:9], v[4:5]
	v_add_f64 v[50:51], v[118:119], v[70:71]
	v_fma_f64 v[118:119], v[136:137], s[6:7], v[2:3]
	v_fma_f64 v[2:3], v[136:137], s[8:9], v[2:3]
	v_add_f64 v[136:137], v[84:85], v[34:35]
	v_add_f64 v[82:83], v[140:141], v[82:83]
	v_fma_f64 v[40:41], v[40:41], -0.5, v[140:141]
	v_add_f64 v[64:65], v[64:65], -v[70:71]
	v_add_f64 v[70:71], v[0:1], v[66:67]
	v_fma_f64 v[0:1], v[56:57], -0.5, v[0:1]
	v_add_f64 v[56:57], v[84:85], -v[34:35]
	ds_write2_b64 v19, v[76:77], v[152:153] offset1:30
	ds_write_b64 v19, v[158:159] offset:480
	ds_write2_b64 v20, v[150:151], v[164:165] offset1:30
	ds_write_b64 v20, v[16:17] offset:480
	v_mul_u32_u24_e32 v16, 0x2d0, v23
	v_lshlrev_b32_sdwa v17, v18, v24 dst_sel:DWORD dst_unused:UNUSED_PAD src0_sel:DWORD src1_sel:BYTE_0
	v_add3_u32 v21, 0, v16, v17
	ds_write2_b64 v21, v[74:75], v[44:45] offset1:30
	ds_write_b64 v21, v[14:15] offset:480
	v_mul_u32_u24_e32 v14, 0x2d0, v25
	v_lshlrev_b32_e32 v15, 3, v26
	v_add3_u32 v22, 0, v14, v15
	ds_write2_b64 v22, v[110:111], v[46:47] offset1:30
	ds_write_b64 v22, v[12:13] offset:480
	v_mul_u32_u24_e32 v12, 0x2d0, v27
	v_lshlrev_b32_e32 v13, 3, v29
	;; [unrolled: 5-line block ×3, first 2 shown]
	v_add3_u32 v24, 0, v10, v11
	v_add_f64 v[84:85], v[236:237], v[84:85]
	v_fma_f64 v[136:137], v[136:137], -0.5, v[236:237]
	v_add_f64 v[66:67], v[66:67], -v[72:73]
	v_add_f64 v[140:141], v[82:83], v[32:33]
	v_fma_f64 v[156:157], v[64:65], s[8:9], v[40:41]
	v_fma_f64 v[180:181], v[64:65], s[6:7], v[40:41]
	v_add_f64 v[32:33], v[70:71], v[72:73]
	v_fma_f64 v[40:41], v[56:57], s[6:7], v[0:1]
	ds_write2_b64 v24, v[48:49], v[54:55] offset1:30
	ds_write_b64 v24, v[8:9] offset:480
	v_mul_u32_u24_e32 v8, 0x2d0, v238
	v_lshlrev_b32_e32 v9, 3, v239
	v_fma_f64 v[0:1], v[56:57], s[8:9], v[0:1]
	v_add3_u32 v25, 0, v8, v9
	ds_write2_b64 v25, v[38:39], v[60:61] offset1:30
	ds_write_b64 v25, v[6:7] offset:480
	v_mul_u32_u24_e32 v6, 0x2d0, v240
	v_lshlrev_b32_e32 v7, 3, v241
	v_add3_u32 v26, 0, v6, v7
	ds_write2_b64 v26, v[62:63], v[78:79] offset1:30
	ds_write_b64 v26, v[4:5] offset:480
	v_mul_u32_u24_e32 v4, 0x2d0, v242
	v_lshlrev_b32_e32 v5, 3, v243
	;; [unrolled: 5-line block ×3, first 2 shown]
	v_add3_u32 v60, 0, v2, v3
	v_add_f64 v[34:35], v[84:85], v[34:35]
	v_fma_f64 v[70:71], v[66:67], s[8:9], v[136:137]
	v_fma_f64 v[65:66], v[66:67], s[6:7], v[136:137]
	ds_write2_b64 v60, v[32:33], v[40:41] offset1:30
	ds_write_b64 v60, v[0:1] offset:480
	s_waitcnt lgkmcnt(0)
	s_barrier
	ds_read2_b64 v[29:32], v94 offset0:42 offset1:123
	ds_read2_b64 v[38:41], v95 offset0:84 offset1:165
	ds_read_b64 v[16:17], v91
	ds_read_b64 v[14:15], v90
	ds_read2_b64 v[42:45], v97 offset0:76 offset1:157
	ds_read2_b64 v[46:49], v98 offset0:118 offset1:199
	;; [unrolled: 1-line block ×4, first 2 shown]
	ds_read_b64 v[230:231], v96
	ds_read_b64 v[12:13], v80
	;; [unrolled: 1-line block ×4, first 2 shown]
	ds_read2_b64 v[61:64], v101 offset0:16 offset1:97
	ds_read2_b64 v[72:75], v102 offset0:58 offset1:139
	;; [unrolled: 1-line block ×4, first 2 shown]
	ds_read_b64 v[6:7], v100
	ds_read_b64 v[4:5], v103
	;; [unrolled: 1-line block ×4, first 2 shown]
	s_waitcnt lgkmcnt(0)
	s_barrier
	ds_write2_b64 v19, v[116:117], v[162:163] offset1:30
	ds_write_b64 v19, v[36:37] offset:480
	ds_write2_b64 v20, v[86:87], v[166:167] offset1:30
	ds_write_b64 v20, v[168:169] offset:480
	;; [unrolled: 2-line block ×10, first 2 shown]
	v_lshlrev_b32_e32 v36, 1, v124
	v_mov_b32_e32 v37, 0
	v_lshlrev_b64 v[19:20], 4, v[36:37]
	v_mov_b32_e32 v60, s13
	v_add_co_u32_e64 v70, s[0:1], s12, v19
	v_addc_co_u32_e64 v71, s[0:1], v60, v20, s[0:1]
	s_waitcnt lgkmcnt(0)
	s_barrier
	global_load_dwordx4 v[86:89], v[70:71], off offset:1280
	global_load_dwordx4 v[108:111], v[70:71], off offset:1296
	v_add_u32_e32 v19, -9, v124
	v_cmp_gt_u32_e64 s[0:1], 9, v124
	v_cndmask_b32_e64 v19, v19, v129, s[0:1]
	v_lshlrev_b32_e32 v20, 1, v19
	v_mov_b32_e32 v21, v37
	v_lshlrev_b64 v[20:21], 4, v[20:21]
	v_lshlrev_b32_e32 v19, 3, v19
	v_add_co_u32_e64 v20, s[0:1], s12, v20
	v_addc_co_u32_e64 v21, s[0:1], v60, v21, s[0:1]
	global_load_dwordx4 v[112:115], v[20:21], off offset:1280
	global_load_dwordx4 v[116:119], v[20:21], off offset:1296
	s_movk_i32 s0, 0xb7
	v_mul_lo_u16_sdwa v20, v132, s0 dst_sel:DWORD dst_unused:UNUSED_PAD src0_sel:BYTE_0 src1_sel:DWORD
	v_lshrrev_b16_e32 v20, 14, v20
	v_mul_lo_u16_e32 v21, 0x5a, v20
	v_sub_u16_e32 v21, v132, v21
	v_lshlrev_b32_sdwa v22, v28, v21 dst_sel:DWORD dst_unused:UNUSED_PAD src0_sel:DWORD src1_sel:BYTE_0
	ds_read2_b64 v[134:137], v94 offset0:42 offset1:123
	ds_read2_b64 v[138:141], v95 offset0:84 offset1:165
	global_load_dwordx4 v[142:145], v22, s[12:13] offset:1296
	global_load_dwordx4 v[146:149], v22, s[12:13] offset:1280
	s_movk_i32 s0, 0x2d83
	v_mul_u32_u24_sdwa v22, v125, s0 dst_sel:DWORD dst_unused:UNUSED_PAD src0_sel:WORD_0 src1_sel:DWORD
	v_lshrrev_b32_e32 v22, 20, v22
	v_mul_lo_u16_e32 v23, 0x5a, v22
	v_sub_u16_e32 v23, v125, v23
	v_lshlrev_b32_e32 v24, 5, v23
	ds_read_b64 v[33:34], v91
	ds_read_b64 v[58:59], v90
	global_load_dwordx4 v[150:153], v24, s[12:13] offset:1296
	global_load_dwordx4 v[154:157], v24, s[12:13] offset:1280
	v_mul_u32_u24_sdwa v24, v127, s0 dst_sel:DWORD dst_unused:UNUSED_PAD src0_sel:WORD_0 src1_sel:DWORD
	v_lshrrev_b32_e32 v24, 20, v24
	v_mul_lo_u16_e32 v25, 0x5a, v24
	v_sub_u16_e32 v25, v127, v25
	v_lshlrev_b32_e32 v26, 5, v25
	global_load_dwordx4 v[158:161], v26, s[12:13] offset:1296
	global_load_dwordx4 v[162:165], v26, s[12:13] offset:1280
	v_mul_u32_u24_sdwa v26, v131, s0 dst_sel:DWORD dst_unused:UNUSED_PAD src0_sel:WORD_0 src1_sel:DWORD
	v_lshrrev_b32_e32 v26, 20, v26
	v_mul_lo_u16_e32 v27, 0x5a, v26
	v_sub_u16_e32 v27, v131, v27
	v_lshlrev_b32_e32 v28, 5, v27
	ds_read2_b64 v[166:169], v97 offset0:76 offset1:157
	ds_read2_b64 v[170:173], v98 offset0:118 offset1:199
	global_load_dwordx4 v[174:177], v28, s[12:13] offset:1296
	global_load_dwordx4 v[178:181], v28, s[12:13] offset:1280
	v_mul_u32_u24_sdwa v28, v126, s0 dst_sel:DWORD dst_unused:UNUSED_PAD src0_sel:WORD_0 src1_sel:DWORD
	v_lshrrev_b32_e32 v67, 20, v28
	v_mul_lo_u16_e32 v28, 0x5a, v67
	v_sub_u16_e32 v244, v126, v28
	v_lshlrev_b32_e32 v28, 5, v244
	global_load_dwordx4 v[182:185], v28, s[12:13] offset:1296
	global_load_dwordx4 v[186:189], v28, s[12:13] offset:1280
	v_mul_u32_u24_sdwa v28, v130, s0 dst_sel:DWORD dst_unused:UNUSED_PAD src0_sel:WORD_0 src1_sel:DWORD
	v_lshrrev_b32_e32 v245, 20, v28
	v_mul_lo_u16_e32 v28, 0x5a, v245
	v_sub_u16_e32 v246, v130, v28
	v_lshlrev_b32_e32 v28, 5, v246
	ds_read2_b64 v[190:193], v69 offset0:110 offset1:191
	ds_read2_b64 v[194:197], v68 offset0:152 offset1:233
	global_load_dwordx4 v[198:201], v28, s[12:13] offset:1296
	global_load_dwordx4 v[202:205], v28, s[12:13] offset:1280
	v_mul_u32_u24_sdwa v28, v133, s0 dst_sel:DWORD dst_unused:UNUSED_PAD src0_sel:WORD_0 src1_sel:DWORD
	v_lshrrev_b32_e32 v247, 20, v28
	v_mul_lo_u16_e32 v28, 0x5a, v247
	v_sub_u16_e32 v248, v133, v28
	v_lshlrev_b32_e32 v28, 5, v248
	global_load_dwordx4 v[206:209], v28, s[12:13] offset:1296
	global_load_dwordx4 v[210:213], v28, s[12:13] offset:1280
	v_mul_u32_u24_sdwa v28, v128, s0 dst_sel:DWORD dst_unused:UNUSED_PAD src0_sel:WORD_0 src1_sel:DWORD
	v_lshrrev_b32_e32 v28, 20, v28
	v_mul_lo_u16_e32 v28, 0x5a, v28
	v_sub_u16_e32 v249, v128, v28
	v_lshlrev_b32_e32 v28, 5, v249
	global_load_dwordx4 v[214:217], v28, s[12:13] offset:1296
	global_load_dwordx4 v[218:221], v28, s[12:13] offset:1280
	ds_read_b64 v[232:233], v96
	ds_read_b64 v[234:235], v80
	;; [unrolled: 1-line block ×4, first 2 shown]
	ds_read2_b64 v[222:225], v101 offset0:16 offset1:97
	ds_read2_b64 v[226:229], v102 offset0:58 offset1:139
	v_cmp_lt_u32_e64 s[0:1], 8, v124
	s_waitcnt vmcnt(19) lgkmcnt(13)
	v_mul_f64 v[65:66], v[134:135], v[88:89]
	v_mul_f64 v[88:89], v[29:30], v[88:89]
	s_waitcnt vmcnt(18) lgkmcnt(12)
	v_mul_f64 v[240:241], v[138:139], v[110:111]
	v_mul_f64 v[110:111], v[38:39], v[110:111]
	v_fma_f64 v[65:66], v[29:30], v[86:87], v[65:66]
	v_fma_f64 v[134:135], v[134:135], v[86:87], -v[88:89]
	v_fma_f64 v[38:39], v[38:39], v[108:109], v[240:241]
	v_fma_f64 v[108:109], v[138:139], v[108:109], -v[110:111]
	s_waitcnt vmcnt(17)
	v_mul_f64 v[28:29], v[136:137], v[114:115]
	v_mul_f64 v[114:115], v[31:32], v[114:115]
	s_waitcnt vmcnt(16)
	v_mul_f64 v[242:243], v[140:141], v[118:119]
	v_mul_f64 v[118:119], v[40:41], v[118:119]
	ds_read2_b64 v[86:89], v105 offset0:50 offset1:131
	v_fma_f64 v[110:111], v[31:32], v[112:113], v[28:29]
	v_fma_f64 v[112:113], v[136:137], v[112:113], -v[114:115]
	v_fma_f64 v[40:41], v[40:41], v[116:117], v[242:243]
	v_fma_f64 v[114:115], v[140:141], v[116:117], -v[118:119]
	s_waitcnt vmcnt(14) lgkmcnt(10)
	v_mul_f64 v[116:117], v[166:167], v[148:149]
	v_mul_f64 v[118:119], v[42:43], v[148:149]
	s_waitcnt lgkmcnt(9)
	v_mul_f64 v[136:137], v[170:171], v[144:145]
	v_mul_f64 v[138:139], v[46:47], v[144:145]
	ds_read2_b64 v[28:31], v106 offset0:92 offset1:173
	ds_read_b64 v[140:141], v100
	ds_read_b64 v[144:145], v103
	;; [unrolled: 1-line block ×4, first 2 shown]
	s_waitcnt vmcnt(0) lgkmcnt(0)
	s_barrier
	v_fma_f64 v[42:43], v[42:43], v[146:147], v[116:117]
	v_mul_f64 v[116:117], v[168:169], v[156:157]
	v_fma_f64 v[118:119], v[166:167], v[146:147], -v[118:119]
	v_mul_f64 v[146:147], v[44:45], v[156:157]
	v_fma_f64 v[46:47], v[46:47], v[142:143], v[136:137]
	v_mul_f64 v[136:137], v[172:173], v[152:153]
	v_fma_f64 v[138:139], v[170:171], v[142:143], -v[138:139]
	v_mul_f64 v[142:143], v[48:49], v[152:153]
	v_mul_f64 v[152:153], v[190:191], v[164:165]
	v_fma_f64 v[44:45], v[44:45], v[154:155], v[116:117]
	v_mul_f64 v[116:117], v[50:51], v[164:165]
	v_fma_f64 v[146:147], v[168:169], v[154:155], -v[146:147]
	v_mul_f64 v[154:155], v[194:195], v[160:161]
	v_fma_f64 v[48:49], v[48:49], v[150:151], v[136:137]
	v_mul_f64 v[136:137], v[54:55], v[160:161]
	v_fma_f64 v[142:143], v[172:173], v[150:151], -v[142:143]
	v_mul_f64 v[150:151], v[192:193], v[180:181]
	v_fma_f64 v[50:51], v[50:51], v[162:163], v[152:153]
	v_mul_f64 v[152:153], v[52:53], v[180:181]
	v_mul_f64 v[160:161], v[226:227], v[184:185]
	v_fma_f64 v[54:55], v[54:55], v[158:159], v[154:155]
	v_mul_f64 v[154:155], v[196:197], v[176:177]
	v_fma_f64 v[136:137], v[194:195], v[158:159], -v[136:137]
	v_mul_f64 v[158:159], v[222:223], v[188:189]
	v_fma_f64 v[52:53], v[52:53], v[178:179], v[150:151]
	v_mul_f64 v[150:151], v[61:62], v[188:189]
	v_fma_f64 v[116:117], v[190:191], v[162:163], -v[116:117]
	v_mul_f64 v[156:157], v[56:57], v[176:177]
	v_mul_f64 v[162:163], v[63:64], v[204:205]
	v_fma_f64 v[56:57], v[56:57], v[174:175], v[154:155]
	v_mul_f64 v[154:155], v[72:73], v[184:185]
	v_fma_f64 v[61:62], v[61:62], v[186:187], v[158:159]
	v_mul_f64 v[158:159], v[224:225], v[204:205]
	v_fma_f64 v[72:73], v[72:73], v[182:183], v[160:161]
	v_mul_f64 v[160:161], v[228:229], v[200:201]
	v_mul_f64 v[166:167], v[86:87], v[212:213]
	;; [unrolled: 1-line block ×5, first 2 shown]
	v_add_f64 v[172:173], v[134:135], -v[108:109]
	v_fma_f64 v[63:64], v[63:64], v[202:203], v[158:159]
	v_mul_f64 v[158:159], v[76:77], v[212:213]
	v_fma_f64 v[74:75], v[74:75], v[198:199], v[160:161]
	v_mul_f64 v[160:161], v[82:83], v[208:209]
	;; [unrolled: 2-line block ×3, first 2 shown]
	v_fma_f64 v[82:83], v[82:83], v[206:207], v[168:169]
	v_add_f64 v[168:169], v[65:66], v[38:39]
	v_fma_f64 v[152:153], v[192:193], v[178:179], -v[152:153]
	v_fma_f64 v[86:87], v[86:87], v[210:211], -v[158:159]
	v_mul_f64 v[158:159], v[78:79], v[220:221]
	v_fma_f64 v[28:29], v[28:29], v[206:207], -v[160:161]
	v_mul_f64 v[160:161], v[30:31], v[216:217]
	v_fma_f64 v[78:79], v[78:79], v[218:219], v[166:167]
	v_add_f64 v[166:167], v[230:231], v[65:66]
	v_fma_f64 v[168:169], v[168:169], -0.5, v[230:231]
	v_fma_f64 v[30:31], v[30:31], v[214:215], -v[170:171]
	v_add_f64 v[170:171], v[16:17], v[110:111]
	v_fma_f64 v[88:89], v[88:89], v[218:219], -v[158:159]
	v_add_f64 v[158:159], v[134:135], v[108:109]
	v_fma_f64 v[84:85], v[84:85], v[214:215], v[160:161]
	v_add_f64 v[134:135], v[232:233], v[134:135]
	v_add_f64 v[160:161], v[166:167], v[38:39]
	v_add_f64 v[38:39], v[65:66], -v[38:39]
	v_add_f64 v[166:167], v[110:111], v[40:41]
	v_fma_f64 v[65:66], v[172:173], s[6:7], v[168:169]
	v_fma_f64 v[168:169], v[172:173], s[8:9], v[168:169]
	v_fma_f64 v[158:159], v[158:159], -0.5, v[232:233]
	v_fma_f64 v[156:157], v[196:197], v[174:175], -v[156:157]
	v_add_f64 v[108:109], v[134:135], v[108:109]
	v_add_f64 v[134:135], v[112:113], v[114:115]
	v_fma_f64 v[150:151], v[222:223], v[186:187], -v[150:151]
	v_fma_f64 v[16:17], v[166:167], -0.5, v[16:17]
	v_add_f64 v[166:167], v[112:113], -v[114:115]
	v_fma_f64 v[154:155], v[226:227], v[182:183], -v[154:155]
	v_fma_f64 v[172:173], v[38:39], s[8:9], v[158:159]
	v_fma_f64 v[158:159], v[38:39], s[6:7], v[158:159]
	v_add_f64 v[38:39], v[33:34], v[112:113]
	v_add_f64 v[112:113], v[170:171], v[40:41]
	;; [unrolled: 1-line block ×3, first 2 shown]
	v_fma_f64 v[32:33], v[134:135], -0.5, v[33:34]
	v_add_f64 v[34:35], v[110:111], -v[40:41]
	v_add_f64 v[110:111], v[14:15], v[42:43]
	v_fma_f64 v[40:41], v[166:167], s[6:7], v[16:17]
	v_fma_f64 v[16:17], v[166:167], s[8:9], v[16:17]
	v_add_f64 v[114:115], v[38:39], v[114:115]
	v_add_f64 v[38:39], v[118:119], v[138:139]
	v_fma_f64 v[14:15], v[170:171], -0.5, v[14:15]
	v_add_f64 v[134:135], v[118:119], -v[138:139]
	v_fma_f64 v[166:167], v[34:35], s[8:9], v[32:33]
	v_fma_f64 v[170:171], v[34:35], s[6:7], v[32:33]
	v_add_f64 v[32:33], v[58:59], v[118:119]
	v_add_f64 v[34:35], v[110:111], v[46:47]
	v_add_f64 v[110:111], v[44:45], v[48:49]
	v_fma_f64 v[38:39], v[38:39], -0.5, v[58:59]
	v_add_f64 v[42:43], v[42:43], -v[46:47]
	v_fma_f64 v[46:47], v[134:135], s[6:7], v[14:15]
	v_fma_f64 v[14:15], v[134:135], s[8:9], v[14:15]
	v_add_f64 v[58:59], v[12:13], v[44:45]
	;; [unrolled: 7-line block ×8, first 2 shown]
	v_add_f64 v[156:157], v[38:39], v[156:157]
	v_add_f64 v[38:39], v[150:151], v[154:155]
	v_fma_f64 v[162:163], v[224:225], v[202:203], -v[162:163]
	v_fma_f64 v[164:165], v[228:229], v[198:199], -v[164:165]
	v_fma_f64 v[6:7], v[152:153], -0.5, v[6:7]
	v_add_f64 v[152:153], v[150:151], -v[154:155]
	v_add_f64 v[150:151], v[140:141], v[150:151]
	v_fma_f64 v[176:177], v[52:53], s[8:9], v[32:33]
	v_fma_f64 v[52:53], v[52:53], s[6:7], v[32:33]
	v_add_f64 v[32:33], v[110:111], v[72:73]
	v_add_f64 v[110:111], v[63:64], v[74:75]
	v_fma_f64 v[38:39], v[38:39], -0.5, v[140:141]
	v_add_f64 v[61:62], v[61:62], -v[72:73]
	v_fma_f64 v[72:73], v[152:153], s[6:7], v[6:7]
	v_fma_f64 v[6:7], v[152:153], s[8:9], v[6:7]
	v_add_f64 v[140:141], v[150:151], v[154:155]
	v_add_f64 v[150:151], v[162:163], v[164:165]
	;; [unrolled: 1-line block ×4, first 2 shown]
	v_fma_f64 v[4:5], v[110:111], -0.5, v[4:5]
	v_add_f64 v[110:111], v[162:163], -v[164:165]
	v_fma_f64 v[154:155], v[61:62], s[8:9], v[38:39]
	v_fma_f64 v[61:62], v[61:62], s[6:7], v[38:39]
	v_add_f64 v[38:39], v[144:145], v[162:163]
	v_fma_f64 v[144:145], v[150:151], -0.5, v[144:145]
	v_add_f64 v[63:64], v[63:64], -v[74:75]
	v_add_f64 v[74:75], v[152:153], v[74:75]
	v_add_f64 v[152:153], v[2:3], v[76:77]
	v_fma_f64 v[2:3], v[178:179], -0.5, v[2:3]
	v_add_f64 v[162:163], v[86:87], -v[28:29]
	v_fma_f64 v[150:151], v[110:111], s[6:7], v[4:5]
	v_fma_f64 v[4:5], v[110:111], s[8:9], v[4:5]
	v_add_f64 v[110:111], v[38:39], v[164:165]
	v_add_f64 v[38:39], v[86:87], v[28:29]
	v_fma_f64 v[164:165], v[63:64], s[8:9], v[144:145]
	v_fma_f64 v[144:145], v[63:64], s[6:7], v[144:145]
	v_add_f64 v[63:64], v[152:153], v[82:83]
	v_add_f64 v[152:153], v[78:79], v[84:85]
	;; [unrolled: 4-line block ×3, first 2 shown]
	v_fma_f64 v[38:39], v[38:39], -0.5, v[148:149]
	v_add_f64 v[148:149], v[88:89], -v[30:31]
	v_add_f64 v[88:89], v[240:241], v[88:89]
	v_add_f64 v[76:77], v[76:77], -v[82:83]
	v_add_f64 v[82:83], v[0:1], v[78:79]
	v_fma_f64 v[0:1], v[152:153], -0.5, v[0:1]
	v_fma_f64 v[152:153], v[162:163], -0.5, v[240:241]
	v_add_f64 v[78:79], v[78:79], -v[84:85]
	ds_write2_b64 v96, v[160:161], v[65:66] offset1:90
	ds_write_b64 v96, v[168:169] offset:1440
	v_add_f64 v[88:89], v[88:89], v[30:31]
	v_mov_b32_e32 v30, 0x870
	v_cndmask_b32_e64 v30, 0, v30, s[0:1]
	v_fma_f64 v[162:163], v[76:77], s[8:9], v[38:39]
	v_fma_f64 v[76:77], v[76:77], s[6:7], v[38:39]
	;; [unrolled: 1-line block ×6, first 2 shown]
	v_add3_u32 v152, 0, v30, v19
	ds_write2_b64 v152, v[112:113], v[40:41] offset1:90
	ds_write_b64 v152, v[16:17] offset:1440
	v_mul_u32_u24_e32 v16, 0x870, v20
	v_lshlrev_b32_sdwa v17, v18, v21 dst_sel:DWORD dst_unused:UNUSED_PAD src0_sel:DWORD src1_sel:BYTE_0
	v_add3_u32 v112, 0, v16, v17
	ds_write2_b64 v112, v[34:35], v[46:47] offset1:90
	ds_write_b64 v112, v[14:15] offset:1440
	v_mul_u32_u24_e32 v14, 0x870, v22
	v_lshlrev_b32_e32 v15, 3, v23
	v_add3_u32 v46, 0, v14, v15
	ds_write2_b64 v46, v[42:43], v[48:49] offset1:90
	ds_write_b64 v46, v[12:13] offset:1440
	v_mul_u32_u24_e32 v12, 0x870, v24
	v_lshlrev_b32_e32 v13, 3, v25
	v_add3_u32 v47, 0, v12, v13
	v_add_f64 v[86:87], v[86:87], v[28:29]
	v_add_f64 v[28:29], v[82:83], v[84:85]
	ds_write2_b64 v47, v[44:45], v[54:55] offset1:90
	ds_write_b64 v47, v[10:11] offset:1440
	v_mul_u32_u24_e32 v10, 0x870, v26
	v_lshlrev_b32_e32 v11, 3, v27
	v_add3_u32 v113, 0, v10, v11
	ds_write2_b64 v113, v[58:59], v[56:57] offset1:90
	ds_write_b64 v113, v[8:9] offset:1440
	v_mul_u32_u24_e32 v8, 0x870, v67
	v_lshlrev_b32_e32 v9, 3, v244
	v_add3_u32 v56, 0, v8, v9
	;; [unrolled: 5-line block ×3, first 2 shown]
	ds_write2_b64 v57, v[74:75], v[150:151] offset1:90
	ds_write_b64 v57, v[4:5] offset:1440
	v_mul_u32_u24_e32 v4, 0x870, v247
	v_lshlrev_b32_e32 v5, 3, v248
	v_lshl_add_u32 v59, v249, 3, 0
	v_add3_u32 v58, 0, v4, v5
	v_add_u32_e32 v67, 0x4000, v59
	ds_write2_b64 v58, v[63:64], v[178:179] offset1:90
	ds_write_b64 v58, v[2:3] offset:1440
	ds_write2_b64 v67, v[28:29], v[38:39] offset0:112 offset1:202
	ds_write_b64 v59, v[0:1] offset:18720
	s_waitcnt lgkmcnt(0)
	s_barrier
	ds_read2_b64 v[63:66], v94 offset0:42 offset1:123
	ds_read2_b64 v[72:75], v95 offset0:84 offset1:165
	ds_read_b64 v[48:49], v91
	ds_read_b64 v[44:45], v90
	ds_read2_b64 v[82:85], v97 offset0:76 offset1:157
	ds_read2_b64 v[24:27], v98 offset0:118 offset1:199
	;; [unrolled: 1-line block ×4, first 2 shown]
	ds_read_b64 v[54:55], v96
	ds_read_b64 v[42:43], v80
	;; [unrolled: 1-line block ×4, first 2 shown]
	ds_read2_b64 v[12:15], v101 offset0:16 offset1:97
	ds_read2_b64 v[8:11], v102 offset0:58 offset1:139
	;; [unrolled: 1-line block ×4, first 2 shown]
	ds_read_b64 v[34:35], v100
	ds_read_b64 v[32:33], v103
	;; [unrolled: 1-line block ×4, first 2 shown]
	s_waitcnt lgkmcnt(0)
	s_barrier
	ds_write2_b64 v96, v[108:109], v[172:173] offset1:90
	ds_write_b64 v96, v[158:159] offset:1440
	ds_write2_b64 v152, v[114:115], v[166:167] offset1:90
	ds_write_b64 v152, v[170:171] offset:1440
	;; [unrolled: 2-line block ×9, first 2 shown]
	ds_write2_b64 v67, v[88:89], v[148:149] offset0:112 offset1:202
	ds_write_b64 v59, v[78:79] offset:18720
	v_add_co_u32_e64 v46, s[0:1], s15, v70
	v_addc_co_u32_e64 v47, s[0:1], 0, v71, s[0:1]
	v_add_co_u32_e64 v61, s[0:1], s16, v70
	v_addc_co_u32_e64 v62, s[0:1], 0, v71, s[0:1]
	s_waitcnt lgkmcnt(0)
	s_barrier
	global_load_dwordx4 v[86:89], v[46:47], off offset:64
	ds_read2_b64 v[110:113], v94 offset0:42 offset1:123
	ds_read2_b64 v[114:117], v95 offset0:84 offset1:165
	ds_read_b64 v[58:59], v91
	ds_read_b64 v[56:57], v90
	ds_read2_b64 v[134:137], v97 offset0:76 offset1:157
	ds_read2_b64 v[138:141], v98 offset0:118 offset1:199
	;; [unrolled: 1-line block ×4, first 2 shown]
	ds_read_b64 v[78:79], v96
	ds_read_b64 v[52:53], v80
	;; [unrolled: 1-line block ×4, first 2 shown]
	ds_read2_b64 v[150:153], v101 offset0:16 offset1:97
	ds_read2_b64 v[154:157], v102 offset0:58 offset1:139
	global_load_dwordx4 v[158:161], v[61:62], off offset:16
	v_lshlrev_b32_e32 v61, 1, v129
	v_mov_b32_e32 v62, v37
	v_lshlrev_b64 v[61:62], 4, v[61:62]
	v_mov_b32_e32 v179, v37
	v_add_co_u32_e64 v76, s[0:1], s12, v61
	v_addc_co_u32_e64 v77, s[0:1], v60, v62, s[0:1]
	v_add_co_u32_e64 v61, s[0:1], s16, v76
	v_addc_co_u32_e64 v62, s[0:1], 0, v77, s[0:1]
	;; [unrolled: 2-line block ×3, first 2 shown]
	global_load_dwordx4 v[162:165], v[108:109], off offset:64
	global_load_dwordx4 v[166:169], v[61:62], off offset:16
	v_lshlrev_b32_e32 v61, 1, v132
	v_mov_b32_e32 v62, v37
	v_lshlrev_b64 v[61:62], 4, v[61:62]
	v_add_u32_e32 v186, 0x6c, v36
	v_add_co_u32_e64 v108, s[0:1], s12, v61
	v_addc_co_u32_e64 v109, s[0:1], v60, v62, s[0:1]
	v_add_co_u32_e64 v61, s[0:1], s16, v108
	v_addc_co_u32_e64 v62, s[0:1], 0, v109, s[0:1]
	;; [unrolled: 2-line block ×3, first 2 shown]
	global_load_dwordx4 v[170:173], v[170:171], off offset:64
	s_nop 0
	global_load_dwordx4 v[174:177], v[61:62], off offset:16
	v_subrev_u32_e32 v61, 27, v124
	v_cmp_gt_u32_e64 s[0:1], 27, v124
	v_cndmask_b32_e64 v61, v61, v125, s[0:1]
	v_lshlrev_b32_e32 v178, 1, v61
	v_lshlrev_b64 v[178:179], 4, v[178:179]
	v_mov_b32_e32 v187, v37
	v_add_co_u32_e64 v62, s[0:1], s12, v178
	v_addc_co_u32_e64 v67, s[0:1], v60, v179, s[0:1]
	v_add_co_u32_e64 v182, s[0:1], s16, v62
	v_addc_co_u32_e64 v183, s[0:1], 0, v67, s[0:1]
	v_add_co_u32_e64 v178, s[0:1], s15, v62
	v_lshlrev_b64 v[186:187], 4, v[186:187]
	v_addc_co_u32_e64 v179, s[0:1], 0, v67, s[0:1]
	v_add_co_u32_e64 v62, s[0:1], s12, v186
	v_addc_co_u32_e64 v67, s[0:1], v60, v187, s[0:1]
	v_add_co_u32_e64 v190, s[0:1], s16, v62
	v_addc_co_u32_e64 v191, s[0:1], 0, v67, s[0:1]
	v_add_u32_e32 v36, 0x10e, v36
	v_add_co_u32_e64 v186, s[0:1], s15, v62
	v_lshlrev_b64 v[194:195], 4, v[36:37]
	global_load_dwordx4 v[178:181], v[178:179], off offset:64
	s_nop 0
	global_load_dwordx4 v[182:185], v[182:183], off offset:16
	v_addc_co_u32_e64 v187, s[0:1], 0, v67, s[0:1]
	v_add_co_u32_e64 v36, s[0:1], s12, v194
	v_addc_co_u32_e64 v62, s[0:1], v60, v195, s[0:1]
	v_add_co_u32_e64 v198, s[0:1], s16, v36
	;; [unrolled: 2-line block ×3, first 2 shown]
	v_mul_u32_u24_sdwa v36, v126, s17 dst_sel:DWORD dst_unused:UNUSED_PAD src0_sel:WORD_0 src1_sel:DWORD
	v_lshrrev_b32_e32 v36, 23, v36
	v_addc_co_u32_e64 v195, s[0:1], 0, v62, s[0:1]
	v_mul_lo_u16_e32 v62, 0x10e, v36
	global_load_dwordx4 v[186:189], v[186:187], off offset:64
	s_nop 0
	global_load_dwordx4 v[190:193], v[190:191], off offset:16
	v_sub_u16_e32 v62, v126, v62
	global_load_dwordx4 v[194:197], v[194:195], off offset:64
	s_nop 0
	global_load_dwordx4 v[198:201], v[198:199], off offset:16
	v_lshlrev_b32_e32 v67, 5, v62
	v_add_co_u32_e64 v67, s[0:1], s12, v67
	v_addc_co_u32_e64 v203, s[0:1], 0, v60, s[0:1]
	v_add_co_u32_e64 v206, s[0:1], s16, v67
	v_addc_co_u32_e64 v207, s[0:1], 0, v203, s[0:1]
	v_add_co_u32_e64 v202, s[0:1], s15, v67
	v_mul_u32_u24_sdwa v67, v130, s17 dst_sel:DWORD dst_unused:UNUSED_PAD src0_sel:WORD_0 src1_sel:DWORD
	v_lshrrev_b32_e32 v67, 23, v67
	v_addc_co_u32_e64 v203, s[0:1], 0, v203, s[0:1]
	v_mul_lo_u16_e32 v67, 0x10e, v67
	global_load_dwordx4 v[202:205], v[202:203], off offset:64
	s_nop 0
	global_load_dwordx4 v[206:209], v[206:207], off offset:16
	v_sub_u16_e32 v67, v130, v67
	v_lshlrev_b32_e32 v210, 5, v67
	v_add_co_u32_e64 v210, s[0:1], s12, v210
	v_addc_co_u32_e64 v211, s[0:1], 0, v60, s[0:1]
	v_add_co_u32_e64 v214, s[0:1], s16, v210
	v_mul_u32_u24_sdwa v218, v133, s17 dst_sel:DWORD dst_unused:UNUSED_PAD src0_sel:WORD_0 src1_sel:DWORD
	v_addc_co_u32_e64 v215, s[0:1], 0, v211, s[0:1]
	v_lshrrev_b32_e32 v218, 23, v218
	v_add_co_u32_e64 v210, s[0:1], s15, v210
	v_mul_lo_u16_e32 v218, 0x10e, v218
	v_addc_co_u32_e64 v211, s[0:1], 0, v211, s[0:1]
	v_sub_u16_e32 v248, v133, v218
	global_load_dwordx4 v[210:213], v[210:211], off offset:64
	s_nop 0
	global_load_dwordx4 v[214:217], v[214:215], off offset:16
	v_lshlrev_b32_e32 v218, 5, v248
	v_add_co_u32_e64 v218, s[0:1], s12, v218
	v_addc_co_u32_e64 v219, s[0:1], 0, v60, s[0:1]
	v_add_co_u32_e64 v222, s[0:1], s16, v218
	v_addc_co_u32_e64 v223, s[0:1], 0, v219, s[0:1]
	;; [unrolled: 2-line block ×3, first 2 shown]
	v_mul_u32_u24_sdwa v226, v128, s17 dst_sel:DWORD dst_unused:UNUSED_PAD src0_sel:WORD_0 src1_sel:DWORD
	global_load_dwordx4 v[218:221], v[218:219], off offset:64
	s_nop 0
	global_load_dwordx4 v[222:225], v[222:223], off offset:16
	v_lshrrev_b32_e32 v226, 23, v226
	v_mul_lo_u16_e32 v226, 0x10e, v226
	v_sub_u16_e32 v249, v128, v226
	v_lshlrev_b32_e32 v226, 5, v249
	v_add_co_u32_e64 v230, s[0:1], s12, v226
	v_addc_co_u32_e64 v60, s[0:1], 0, v60, s[0:1]
	v_add_co_u32_e64 v226, s[0:1], s15, v230
	v_addc_co_u32_e64 v227, s[0:1], 0, v60, s[0:1]
	global_load_dwordx4 v[226:229], v[226:227], off offset:64
	v_add_co_u32_e64 v230, s[0:1], s16, v230
	v_addc_co_u32_e64 v231, s[0:1], 0, v60, s[0:1]
	global_load_dwordx4 v[230:233], v[230:231], off offset:16
	s_waitcnt vmcnt(19) lgkmcnt(13)
	v_mul_f64 v[118:119], v[110:111], v[88:89]
	v_mul_f64 v[88:89], v[63:64], v[88:89]
	s_waitcnt vmcnt(17)
	v_mul_f64 v[242:243], v[112:113], v[164:165]
	s_waitcnt vmcnt(16) lgkmcnt(12)
	v_mul_f64 v[246:247], v[116:117], v[168:169]
	ds_read2_b64 v[234:237], v105 offset0:50 offset1:131
	ds_read2_b64 v[238:241], v106 offset0:92 offset1:173
	v_cmp_lt_u32_e64 s[0:1], 26, v124
	v_fma_f64 v[63:64], v[63:64], v[86:87], v[118:119]
	v_fma_f64 v[86:87], v[110:111], v[86:87], -v[88:89]
	v_mul_f64 v[88:89], v[114:115], v[160:161]
	v_mul_f64 v[110:111], v[65:66], v[164:165]
	v_mul_f64 v[118:119], v[72:73], v[160:161]
	v_fma_f64 v[65:66], v[65:66], v[162:163], v[242:243]
	ds_read_b64 v[160:161], v100
	ds_read_b64 v[164:165], v103
	;; [unrolled: 1-line block ×4, first 2 shown]
	s_waitcnt vmcnt(0) lgkmcnt(0)
	s_barrier
	v_fma_f64 v[72:73], v[72:73], v[158:159], v[88:89]
	v_fma_f64 v[110:111], v[112:113], v[162:163], -v[110:111]
	v_mul_f64 v[112:113], v[74:75], v[168:169]
	v_mul_f64 v[88:89], v[82:83], v[172:173]
	v_fma_f64 v[114:115], v[114:115], v[158:159], -v[118:119]
	v_mul_f64 v[158:159], v[24:25], v[176:177]
	v_mul_f64 v[162:163], v[134:135], v[172:173]
	;; [unrolled: 1-line block ×3, first 2 shown]
	v_fma_f64 v[74:75], v[74:75], v[166:167], v[246:247]
	v_fma_f64 v[112:113], v[116:117], v[166:167], -v[112:113]
	v_mul_f64 v[116:117], v[136:137], v[180:181]
	v_fma_f64 v[88:89], v[134:135], v[170:171], -v[88:89]
	v_mul_f64 v[134:135], v[84:85], v[180:181]
	v_fma_f64 v[138:139], v[138:139], v[174:175], -v[158:159]
	v_mul_f64 v[158:159], v[26:27], v[184:185]
	v_fma_f64 v[24:25], v[24:25], v[174:175], v[118:119]
	v_mul_f64 v[118:119], v[140:141], v[184:185]
	v_fma_f64 v[82:83], v[82:83], v[170:171], v[162:163]
	v_fma_f64 v[84:85], v[84:85], v[178:179], v[116:117]
	v_mul_f64 v[116:117], v[20:21], v[188:189]
	v_fma_f64 v[134:135], v[136:137], v[178:179], -v[134:135]
	v_mul_f64 v[136:137], v[146:147], v[192:193]
	v_fma_f64 v[140:141], v[140:141], v[182:183], -v[158:159]
	v_mul_f64 v[158:159], v[144:145], v[196:197]
	v_mul_f64 v[162:163], v[142:143], v[188:189]
	v_fma_f64 v[26:27], v[26:27], v[182:183], v[118:119]
	v_mul_f64 v[118:119], v[16:17], v[192:193]
	v_fma_f64 v[116:117], v[142:143], v[186:187], -v[116:117]
	v_mul_f64 v[142:143], v[22:23], v[196:197]
	v_fma_f64 v[16:17], v[16:17], v[190:191], v[136:137]
	v_mul_f64 v[136:137], v[148:149], v[200:201]
	v_fma_f64 v[22:23], v[22:23], v[194:195], v[158:159]
	;; [unrolled: 2-line block ×3, first 2 shown]
	v_fma_f64 v[118:119], v[146:147], v[190:191], -v[118:119]
	v_mul_f64 v[146:147], v[18:19], v[200:201]
	v_mul_f64 v[162:163], v[150:151], v[204:205]
	v_fma_f64 v[142:143], v[144:145], v[194:195], -v[142:143]
	v_mul_f64 v[144:145], v[154:155], v[208:209]
	v_fma_f64 v[18:19], v[18:19], v[198:199], v[136:137]
	v_mul_f64 v[136:137], v[8:9], v[208:209]
	v_fma_f64 v[150:151], v[150:151], v[202:203], -v[158:159]
	v_mul_f64 v[158:159], v[14:15], v[212:213]
	v_fma_f64 v[146:147], v[148:149], v[198:199], -v[146:147]
	v_mul_f64 v[148:149], v[152:153], v[212:213]
	v_fma_f64 v[12:13], v[12:13], v[202:203], v[162:163]
	v_fma_f64 v[8:9], v[8:9], v[206:207], v[144:145]
	v_mul_f64 v[144:145], v[156:157], v[216:217]
	v_fma_f64 v[136:137], v[154:155], v[206:207], -v[136:137]
	v_mul_f64 v[154:155], v[10:11], v[216:217]
	v_fma_f64 v[152:153], v[152:153], v[210:211], -v[158:159]
	v_mul_f64 v[158:159], v[238:239], v[224:225]
	v_mul_f64 v[162:163], v[234:235], v[220:221]
	v_add_f64 v[170:171], v[86:87], v[114:115]
	v_fma_f64 v[14:15], v[14:15], v[210:211], v[148:149]
	v_fma_f64 v[10:11], v[10:11], v[214:215], v[144:145]
	v_mul_f64 v[144:145], v[0:1], v[224:225]
	v_fma_f64 v[154:155], v[156:157], v[214:215], -v[154:155]
	v_mul_f64 v[156:157], v[236:237], v[228:229]
	v_fma_f64 v[0:1], v[0:1], v[222:223], v[158:159]
	v_add_f64 v[158:159], v[63:64], v[72:73]
	v_mul_f64 v[148:149], v[4:5], v[220:221]
	v_fma_f64 v[4:5], v[4:5], v[218:219], v[162:163]
	v_mul_f64 v[162:163], v[6:7], v[228:229]
	v_mul_f64 v[166:167], v[240:241], v[232:233]
	;; [unrolled: 1-line block ×3, first 2 shown]
	v_fma_f64 v[6:7], v[6:7], v[226:227], v[156:157]
	v_add_f64 v[156:157], v[54:55], v[63:64]
	v_fma_f64 v[54:55], v[158:159], -0.5, v[54:55]
	v_add_f64 v[158:159], v[86:87], -v[114:115]
	v_add_f64 v[86:87], v[78:79], v[86:87]
	v_fma_f64 v[78:79], v[170:171], -0.5, v[78:79]
	v_add_f64 v[63:64], v[63:64], -v[72:73]
	v_fma_f64 v[2:3], v[2:3], v[230:231], v[166:167]
	v_fma_f64 v[166:167], v[240:241], v[230:231], -v[168:169]
	v_add_f64 v[168:169], v[65:66], v[74:75]
	v_add_f64 v[156:157], v[156:157], v[72:73]
	v_fma_f64 v[72:73], v[158:159], s[6:7], v[54:55]
	v_add_f64 v[114:115], v[86:87], v[114:115]
	v_add_f64 v[86:87], v[110:111], v[112:113]
	v_fma_f64 v[170:171], v[63:64], s[8:9], v[78:79]
	v_fma_f64 v[172:173], v[63:64], s[6:7], v[78:79]
	v_add_f64 v[63:64], v[58:59], v[110:111]
	v_fma_f64 v[54:55], v[158:159], s[8:9], v[54:55]
	v_add_f64 v[158:159], v[48:49], v[65:66]
	v_fma_f64 v[48:49], v[168:169], -0.5, v[48:49]
	v_add_f64 v[168:169], v[110:111], -v[112:113]
	v_add_f64 v[110:111], v[82:83], v[24:25]
	v_fma_f64 v[58:59], v[86:87], -0.5, v[58:59]
	v_add_f64 v[65:66], v[65:66], -v[74:75]
	v_add_f64 v[86:87], v[44:45], v[82:83]
	v_add_f64 v[112:113], v[63:64], v[112:113]
	;; [unrolled: 1-line block ×4, first 2 shown]
	v_fma_f64 v[74:75], v[168:169], s[6:7], v[48:49]
	v_fma_f64 v[48:49], v[168:169], s[8:9], v[48:49]
	v_fma_f64 v[44:45], v[110:111], -0.5, v[44:45]
	v_add_f64 v[110:111], v[88:89], -v[138:139]
	v_fma_f64 v[158:159], v[65:66], s[8:9], v[58:59]
	v_fma_f64 v[168:169], v[65:66], s[6:7], v[58:59]
	v_add_f64 v[58:59], v[56:57], v[88:89]
	v_add_f64 v[65:66], v[86:87], v[24:25]
	v_fma_f64 v[56:57], v[63:64], -0.5, v[56:57]
	v_add_f64 v[24:25], v[82:83], -v[24:25]
	v_add_f64 v[86:87], v[84:85], v[26:27]
	v_fma_f64 v[63:64], v[110:111], s[6:7], v[44:45]
	v_fma_f64 v[44:45], v[110:111], s[8:9], v[44:45]
	v_add_f64 v[82:83], v[42:43], v[84:85]
	v_add_f64 v[110:111], v[58:59], v[138:139]
	;; [unrolled: 1-line block ×3, first 2 shown]
	v_fma_f64 v[148:149], v[234:235], v[218:219], -v[148:149]
	v_fma_f64 v[138:139], v[24:25], s[8:9], v[56:57]
	v_fma_f64 v[174:175], v[24:25], s[6:7], v[56:57]
	v_add_f64 v[24:25], v[52:53], v[134:135]
	v_fma_f64 v[42:43], v[86:87], -0.5, v[42:43]
	v_add_f64 v[86:87], v[134:135], -v[140:141]
	v_add_f64 v[56:57], v[82:83], v[26:27]
	v_add_f64 v[82:83], v[20:21], v[16:17]
	v_fma_f64 v[52:53], v[58:59], -0.5, v[52:53]
	v_add_f64 v[26:27], v[84:85], -v[26:27]
	v_add_f64 v[84:85], v[40:41], v[20:21]
	v_add_f64 v[134:135], v[24:25], v[140:141]
	;; [unrolled: 1-line block ×3, first 2 shown]
	v_fma_f64 v[144:145], v[238:239], v[222:223], -v[144:145]
	v_fma_f64 v[58:59], v[86:87], s[6:7], v[42:43]
	v_fma_f64 v[40:41], v[82:83], -0.5, v[40:41]
	v_add_f64 v[82:83], v[116:117], -v[118:119]
	v_fma_f64 v[140:141], v[26:27], s[8:9], v[52:53]
	v_fma_f64 v[176:177], v[26:27], s[6:7], v[52:53]
	v_add_f64 v[26:27], v[50:51], v[116:117]
	v_add_f64 v[52:53], v[84:85], v[16:17]
	v_add_f64 v[84:85], v[22:23], v[18:19]
	v_fma_f64 v[24:25], v[24:25], -0.5, v[50:51]
	v_add_f64 v[16:17], v[20:21], -v[16:17]
	v_fma_f64 v[20:21], v[82:83], s[6:7], v[40:41]
	v_fma_f64 v[40:41], v[82:83], s[8:9], v[40:41]
	v_add_f64 v[50:51], v[38:39], v[22:23]
	v_add_f64 v[116:117], v[26:27], v[118:119]
	v_add_f64 v[26:27], v[142:143], v[146:147]
	;; [unrolled: 7-line block ×4, first 2 shown]
	v_fma_f64 v[34:35], v[84:85], -0.5, v[34:35]
	v_add_f64 v[82:83], v[150:151], -v[136:137]
	v_add_f64 v[84:85], v[160:161], v[150:151]
	v_fma_f64 v[42:43], v[86:87], s[8:9], v[42:43]
	v_fma_f64 v[146:147], v[18:19], s[8:9], v[26:27]
	;; [unrolled: 1-line block ×3, first 2 shown]
	v_add_f64 v[26:27], v[46:47], v[8:9]
	v_fma_f64 v[24:25], v[24:25], -0.5, v[160:161]
	v_add_f64 v[8:9], v[12:13], -v[8:9]
	v_fma_f64 v[12:13], v[82:83], s[6:7], v[34:35]
	v_fma_f64 v[34:35], v[82:83], s[8:9], v[34:35]
	v_add_f64 v[136:137], v[84:85], v[136:137]
	v_add_f64 v[82:83], v[152:153], v[154:155]
	;; [unrolled: 1-line block ×5, first 2 shown]
	v_fma_f64 v[162:163], v[236:237], v[226:227], -v[162:163]
	v_fma_f64 v[150:151], v[8:9], s[8:9], v[24:25]
	v_fma_f64 v[160:161], v[8:9], s[6:7], v[24:25]
	v_add_f64 v[8:9], v[164:165], v[152:153]
	v_fma_f64 v[24:25], v[82:83], -0.5, v[164:165]
	v_add_f64 v[14:15], v[14:15], -v[10:11]
	v_add_f64 v[10:11], v[84:85], v[10:11]
	v_add_f64 v[84:85], v[30:31], v[4:5]
	v_fma_f64 v[30:31], v[86:87], -0.5, v[30:31]
	v_add_f64 v[86:87], v[148:149], -v[144:145]
	v_fma_f64 v[32:33], v[46:47], -0.5, v[32:33]
	v_add_f64 v[46:47], v[152:153], -v[154:155]
	v_add_f64 v[152:153], v[8:9], v[154:155]
	v_fma_f64 v[154:155], v[14:15], s[8:9], v[24:25]
	v_fma_f64 v[14:15], v[14:15], s[6:7], v[24:25]
	v_add_f64 v[24:25], v[84:85], v[0:1]
	v_add_f64 v[8:9], v[148:149], v[144:145]
	v_fma_f64 v[84:85], v[86:87], s[6:7], v[30:31]
	v_fma_f64 v[30:31], v[86:87], s[8:9], v[30:31]
	v_add_f64 v[86:87], v[162:163], v[166:167]
	v_fma_f64 v[82:83], v[46:47], s[6:7], v[32:33]
	v_fma_f64 v[32:33], v[46:47], s[8:9], v[32:33]
	v_add_f64 v[46:47], v[6:7], v[2:3]
	v_add_f64 v[88:89], v[242:243], v[148:149]
	v_add_f64 v[0:1], v[4:5], -v[0:1]
	v_add_f64 v[4:5], v[28:29], v[6:7]
	v_add_f64 v[148:149], v[244:245], v[162:163]
	v_fma_f64 v[86:87], v[86:87], -0.5, v[244:245]
	v_add_f64 v[6:7], v[6:7], -v[2:3]
	v_fma_f64 v[8:9], v[8:9], -0.5, v[242:243]
	v_fma_f64 v[28:29], v[46:47], -0.5, v[28:29]
	v_add_f64 v[46:47], v[162:163], -v[166:167]
	ds_write_b64 v96, v[156:157]
	ds_write_b64 v96, v[72:73] offset:2160
	ds_write_b64 v96, v[54:55] offset:4320
	ds_write_b64 v91, v[78:79]
	ds_write_b64 v91, v[74:75] offset:2160
	ds_write_b64 v91, v[48:49] offset:4320
	;; [unrolled: 3-line block ×3, first 2 shown]
	v_add_f64 v[144:145], v[88:89], v[144:145]
	v_add_f64 v[148:149], v[148:149], v[166:167]
	v_fma_f64 v[166:167], v[6:7], s[8:9], v[86:87]
	v_fma_f64 v[178:179], v[6:7], s[6:7], v[86:87]
	v_mov_b32_e32 v6, 0x1950
	v_fma_f64 v[162:163], v[0:1], s[8:9], v[8:9]
	v_fma_f64 v[164:165], v[0:1], s[6:7], v[8:9]
	v_add_f64 v[0:1], v[4:5], v[2:3]
	v_cndmask_b32_e64 v6, 0, v6, s[0:1]
	v_lshlrev_b32_e32 v7, 3, v61
	v_fma_f64 v[2:3], v[46:47], s[6:7], v[28:29]
	v_add3_u32 v48, 0, v6, v7
	v_lshl_add_u32 v6, v124, 3, 0
	v_fma_f64 v[4:5], v[46:47], s[8:9], v[28:29]
	v_add_u32_e32 v49, 0x1800, v6
	ds_write_b64 v48, v[56:57]
	ds_write_b64 v48, v[58:59] offset:2160
	ds_write_b64 v48, v[42:43] offset:4320
	ds_write2_b64 v49, v[52:53], v[50:51] offset0:96 offset1:177
	v_add_u32_e32 v50, 0x2000, v6
	ds_write2_b64 v50, v[20:21], v[22:23] offset0:110 offset1:191
	v_add_u32_e32 v22, 0x2800, v6
	v_mul_u32_u24_e32 v6, 0x1950, v36
	v_lshlrev_b32_e32 v7, 3, v62
	v_add3_u32 v23, 0, v6, v7
	ds_write2_b64 v22, v[40:41], v[38:39] offset0:124 offset1:205
	ds_write_b64 v23, v[26:27]
	ds_write_b64 v23, v[12:13] offset:2160
	ds_write_b64 v23, v[34:35] offset:4320
	v_lshl_add_u32 v12, v67, 3, 0
	ds_write_b64 v12, v[10:11] offset:12960
	ds_write_b64 v12, v[82:83] offset:15120
	;; [unrolled: 1-line block ×3, first 2 shown]
	v_lshl_add_u32 v10, v248, 3, 0
	v_lshl_add_u32 v11, v249, 3, 0
	ds_write_b64 v10, v[24:25] offset:12960
	ds_write_b64 v10, v[84:85] offset:15120
	;; [unrolled: 1-line block ×6, first 2 shown]
	s_waitcnt lgkmcnt(0)
	s_barrier
	ds_read2_b64 v[40:43], v94 offset0:42 offset1:123
	ds_read2_b64 v[44:47], v95 offset0:84 offset1:165
	ds_read_b64 v[84:85], v91
	ds_read_b64 v[86:87], v90
	ds_read2_b64 v[52:55], v97 offset0:76 offset1:157
	ds_read2_b64 v[56:59], v98 offset0:118 offset1:199
	;; [unrolled: 1-line block ×4, first 2 shown]
	ds_read_b64 v[82:83], v96
	ds_read_b64 v[88:89], v80
	;; [unrolled: 1-line block ×4, first 2 shown]
	ds_read2_b64 v[24:27], v101 offset0:16 offset1:97
	ds_read2_b64 v[28:31], v102 offset0:58 offset1:139
	;; [unrolled: 1-line block ×4, first 2 shown]
	ds_read_b64 v[74:75], v100
	ds_read_b64 v[20:21], v103
	;; [unrolled: 1-line block ×4, first 2 shown]
	s_waitcnt lgkmcnt(0)
	s_barrier
	ds_write_b64 v96, v[114:115]
	ds_write_b64 v96, v[170:171] offset:2160
	ds_write_b64 v96, v[172:173] offset:4320
	ds_write_b64 v91, v[112:113]
	ds_write_b64 v91, v[158:159] offset:2160
	ds_write_b64 v91, v[168:169] offset:4320
	ds_write_b64 v90, v[110:111]
	ds_write_b64 v90, v[138:139] offset:2160
	ds_write_b64 v90, v[174:175] offset:4320
	ds_write_b64 v48, v[134:135]
	ds_write_b64 v48, v[140:141] offset:2160
	ds_write_b64 v48, v[176:177] offset:4320
	ds_write2_b64 v49, v[116:117], v[142:143] offset0:96 offset1:177
	ds_write2_b64 v50, v[118:119], v[146:147] offset0:110 offset1:191
	;; [unrolled: 1-line block ×3, first 2 shown]
	ds_write_b64 v23, v[136:137]
	ds_write_b64 v23, v[150:151] offset:2160
	ds_write_b64 v23, v[160:161] offset:4320
	;; [unrolled: 1-line block ×11, first 2 shown]
	s_waitcnt lgkmcnt(0)
	s_barrier
	s_and_saveexec_b64 s[0:1], vcc
	s_cbranch_execz .LBB0_15
; %bb.14:
	v_lshlrev_b32_e32 v36, 1, v128
	v_lshlrev_b64 v[10:11], 4, v[36:37]
	v_mov_b32_e32 v48, s13
	v_add_co_u32_e32 v10, vcc, s12, v10
	v_addc_co_u32_e32 v11, vcc, v48, v11, vcc
	s_movk_i32 s0, 0x3200
	v_add_co_u32_e32 v18, vcc, s0, v10
	v_addc_co_u32_e32 v19, vcc, 0, v11, vcc
	v_add_co_u32_e32 v22, vcc, s14, v10
	v_addc_co_u32_e32 v23, vcc, 0, v11, vcc
	v_lshlrev_b32_e32 v36, 1, v133
	global_load_dwordx4 v[10:13], v[22:23], off offset:512
	global_load_dwordx4 v[14:17], v[18:19], off offset:16
	v_lshlrev_b64 v[18:19], 4, v[36:37]
	v_lshlrev_b32_e32 v36, 1, v130
	v_add_co_u32_e32 v22, vcc, s12, v18
	v_addc_co_u32_e32 v23, vcc, v48, v19, vcc
	v_add_co_u32_e32 v18, vcc, s0, v22
	v_addc_co_u32_e32 v19, vcc, 0, v23, vcc
	;; [unrolled: 2-line block ×3, first 2 shown]
	global_load_dwordx4 v[112:115], v[22:23], off offset:512
	global_load_dwordx4 v[116:119], v[18:19], off offset:16
	v_lshlrev_b64 v[38:39], 4, v[36:37]
	v_lshlrev_b32_e32 v36, 1, v126
	v_lshlrev_b64 v[49:50], 4, v[36:37]
	v_add_co_u32_e32 v36, vcc, s12, v38
	v_mul_i32_i24_e32 v111, 0xffffffb8, v132
	ds_read2_b64 v[132:135], v105 offset0:50 offset1:131
	ds_read2_b64 v[136:139], v106 offset0:92 offset1:173
	ds_read_b64 v[18:19], v107
	ds_read_b64 v[22:23], v104
	;; [unrolled: 1-line block ×3, first 2 shown]
	v_addc_co_u32_e32 v104, vcc, v48, v39, vcc
	v_add_co_u32_e32 v38, vcc, s0, v36
	v_addc_co_u32_e32 v39, vcc, 0, v104, vcc
	v_add_co_u32_e32 v103, vcc, s14, v36
	;; [unrolled: 2-line block ×3, first 2 shown]
	global_load_dwordx4 v[103:106], v[103:104], off offset:512
	s_nop 0
	global_load_dwordx4 v[140:143], v[38:39], off offset:16
	v_addc_co_u32_e32 v50, vcc, v48, v50, vcc
	v_add_co_u32_e32 v38, vcc, s0, v36
	v_addc_co_u32_e32 v39, vcc, 0, v50, vcc
	v_add_co_u32_e32 v49, vcc, s14, v36
	v_addc_co_u32_e32 v50, vcc, 0, v50, vcc
	global_load_dwordx4 v[144:147], v[49:50], off offset:512
	global_load_dwordx4 v[148:151], v[38:39], off offset:16
	v_mul_i32_i24_e32 v110, 0xffffffb8, v129
	v_lshlrev_b32_e32 v36, 1, v131
	v_mul_lo_u32 v51, s5, v122
	v_mul_lo_u32 v123, s4, v123
	v_mad_u64_u32 v[90:91], s[4:5], s4, v122, 0
	v_add_u32_e32 v92, v92, v110
	s_movk_i32 s1, 0x97e
	v_add3_u32 v91, v91, v123, v51
	v_lshlrev_b64 v[122:123], 4, v[36:37]
	v_add_co_u32_e32 v36, vcc, s12, v122
	v_addc_co_u32_e32 v51, vcc, v48, v123, vcc
	s_waitcnt vmcnt(7)
	v_mul_f64 v[38:39], v[6:7], v[12:13]
	s_waitcnt vmcnt(6)
	v_mul_f64 v[49:50], v[2:3], v[16:17]
	s_waitcnt lgkmcnt(4)
	v_mul_f64 v[12:13], v[134:135], v[12:13]
	s_waitcnt lgkmcnt(3)
	v_mul_f64 v[16:17], v[138:139], v[16:17]
	v_fma_f64 v[38:39], v[10:11], v[134:135], -v[38:39]
	v_fma_f64 v[49:50], v[14:15], v[138:139], -v[49:50]
	v_fma_f64 v[6:7], v[6:7], v[10:11], v[12:13]
	v_fma_f64 v[12:13], v[2:3], v[14:15], v[16:17]
	v_add_co_u32_e32 v10, vcc, s14, v36
	v_addc_co_u32_e32 v11, vcc, 0, v51, vcc
	s_waitcnt vmcnt(5)
	v_mul_f64 v[128:129], v[4:5], v[114:115]
	s_waitcnt vmcnt(4)
	v_mul_f64 v[130:131], v[0:1], v[118:119]
	v_mul_f64 v[114:115], v[132:133], v[114:115]
	;; [unrolled: 1-line block ×3, first 2 shown]
	v_add_f64 v[2:3], v[38:39], v[49:50]
	v_fma_f64 v[16:17], v[112:113], v[132:133], -v[128:129]
	v_fma_f64 v[122:123], v[116:117], v[136:137], -v[130:131]
	v_fma_f64 v[156:157], v[4:5], v[112:113], v[114:115]
	v_add_f64 v[4:5], v[6:7], v[12:13]
	v_fma_f64 v[158:159], v[0:1], v[116:117], v[118:119]
	v_add_f64 v[0:1], v[6:7], -v[12:13]
	s_waitcnt lgkmcnt(2)
	v_fma_f64 v[116:117], v[2:3], -0.5, v[18:19]
	global_load_dwordx4 v[112:115], v[10:11], off offset:512
	v_add_f64 v[10:11], v[18:19], v[38:39]
	v_add_f64 v[14:15], v[16:17], v[122:123]
	v_add_f64 v[18:19], v[38:39], -v[49:50]
	v_fma_f64 v[4:5], v[4:5], -0.5, v[8:9]
	v_add_f64 v[8:9], v[8:9], v[6:7]
	v_add_f64 v[38:39], v[156:157], -v[158:159]
	v_fma_f64 v[2:3], v[0:1], s[6:7], v[116:117]
	v_fma_f64 v[6:7], v[0:1], s[8:9], v[116:117]
	v_add_f64 v[116:117], v[156:157], v[158:159]
	s_waitcnt lgkmcnt(1)
	v_fma_f64 v[118:119], v[14:15], -0.5, v[22:23]
	v_add_f64 v[10:11], v[10:11], v[49:50]
	v_fma_f64 v[0:1], v[18:19], s[8:9], v[4:5]
	v_add_f64 v[8:9], v[8:9], v[12:13]
	v_add_f64 v[12:13], v[22:23], v[16:17]
	v_add_co_u32_e32 v22, vcc, s0, v36
	v_addc_co_u32_e32 v23, vcc, 0, v51, vcc
	v_fma_f64 v[4:5], v[18:19], s[6:7], v[4:5]
	v_fma_f64 v[14:15], v[38:39], s[6:7], v[118:119]
	;; [unrolled: 1-line block ×3, first 2 shown]
	v_fma_f64 v[38:39], v[116:117], -0.5, v[32:33]
	ds_read2_b64 v[116:119], v101 offset0:16 offset1:97
	ds_read2_b64 v[128:131], v102 offset0:58 offset1:139
	global_load_dwordx4 v[132:135], v[22:23], off offset:16
	v_lshlrev_b32_e32 v36, 1, v127
	v_lshlrev_b64 v[22:23], 4, v[36:37]
	s_waitcnt vmcnt(4)
	v_mul_f64 v[101:102], v[30:31], v[142:143]
	v_add_co_u32_e32 v36, vcc, s12, v22
	v_addc_co_u32_e32 v50, vcc, v48, v23, vcc
	v_add_co_u32_e32 v22, vcc, s0, v36
	v_addc_co_u32_e32 v23, vcc, 0, v50, vcc
	v_add_co_u32_e32 v49, vcc, s14, v36
	v_addc_co_u32_e32 v50, vcc, 0, v50, vcc
	global_load_dwordx4 v[136:139], v[49:50], off offset:512
	global_load_dwordx4 v[152:155], v[22:23], off offset:16
	v_mul_f64 v[49:50], v[26:27], v[105:106]
	s_waitcnt lgkmcnt(1)
	v_mul_f64 v[105:106], v[118:119], v[105:106]
	s_waitcnt lgkmcnt(0)
	v_mul_f64 v[126:127], v[130:131], v[142:143]
	s_waitcnt vmcnt(5)
	v_mul_f64 v[142:143], v[24:25], v[146:147]
	s_waitcnt vmcnt(4)
	v_mul_f64 v[160:161], v[28:29], v[150:151]
	v_add_f64 v[16:17], v[16:17], -v[122:123]
	v_fma_f64 v[101:102], v[140:141], v[130:131], -v[101:102]
	v_add_f64 v[22:23], v[12:13], v[122:123]
	v_fma_f64 v[49:50], v[103:104], v[118:119], -v[49:50]
	v_fma_f64 v[26:27], v[26:27], v[103:104], v[105:106]
	v_fma_f64 v[103:104], v[30:31], v[140:141], v[126:127]
	v_fma_f64 v[122:123], v[144:145], v[116:117], -v[142:143]
	v_fma_f64 v[130:131], v[148:149], v[128:129], -v[160:161]
	v_mul_f64 v[30:31], v[116:117], v[146:147]
	v_mul_f64 v[105:106], v[128:129], v[150:151]
	v_fma_f64 v[12:13], v[16:17], s[8:9], v[38:39]
	v_add_f64 v[116:117], v[49:50], v[101:102]
	v_fma_f64 v[16:17], v[16:17], s[6:7], v[38:39]
	v_add_f64 v[38:39], v[26:27], v[103:104]
	v_add_f64 v[32:33], v[32:33], v[156:157]
	;; [unrolled: 1-line block ×3, first 2 shown]
	v_fma_f64 v[150:151], v[24:25], v[144:145], v[30:31]
	v_fma_f64 v[148:149], v[28:29], v[148:149], v[105:106]
	v_add_f64 v[28:29], v[26:27], -v[103:104]
	v_fma_f64 v[24:25], v[116:117], -0.5, v[34:35]
	v_add_f64 v[34:35], v[34:35], v[49:50]
	v_fma_f64 v[38:39], v[38:39], -0.5, v[20:21]
	v_add_f64 v[49:50], v[49:50], -v[101:102]
	ds_read_b64 v[118:119], v100
	v_add_f64 v[105:106], v[20:21], v[26:27]
	v_lshlrev_b32_e32 v36, 1, v125
	v_lshlrev_b64 v[36:37], 4, v[36:37]
	v_fma_f64 v[26:27], v[28:29], s[6:7], v[24:25]
	s_waitcnt lgkmcnt(0)
	v_fma_f64 v[116:117], v[126:127], -0.5, v[118:119]
	v_add_f64 v[126:127], v[150:151], -v[148:149]
	v_fma_f64 v[30:31], v[28:29], s[8:9], v[24:25]
	v_fma_f64 v[24:25], v[49:50], s[8:9], v[38:39]
	;; [unrolled: 1-line block ×3, first 2 shown]
	v_add_co_u32_e32 v49, vcc, s12, v36
	v_add_f64 v[20:21], v[32:33], v[158:159]
	v_add_f64 v[34:35], v[34:35], v[101:102]
	;; [unrolled: 1-line block ×3, first 2 shown]
	ds_read2_b64 v[100:103], v69 offset0:110 offset1:191
	v_addc_co_u32_e32 v69, vcc, v48, v37, vcc
	v_add_co_u32_e32 v36, vcc, s0, v49
	v_addc_co_u32_e32 v37, vcc, 0, v69, vcc
	v_add_co_u32_e32 v48, vcc, s14, v49
	v_addc_co_u32_e32 v49, vcc, 0, v69, vcc
	v_fma_f64 v[38:39], v[126:127], s[6:7], v[116:117]
	v_fma_f64 v[50:51], v[126:127], s[8:9], v[116:117]
	v_add_f64 v[156:157], v[118:119], v[122:123]
	global_load_dwordx4 v[104:107], v[48:49], off offset:512
	global_load_dwordx4 v[116:119], v[36:37], off offset:16
	v_add_co_u32_e32 v48, vcc, s0, v108
	v_addc_co_u32_e32 v49, vcc, 0, v109, vcc
	ds_read2_b64 v[125:128], v68 offset0:152 offset1:233
	v_add_co_u32_e32 v68, vcc, s14, v108
	v_addc_co_u32_e32 v69, vcc, 0, v109, vcc
	global_load_dwordx4 v[140:143], v[68:69], off offset:512
	global_load_dwordx4 v[144:147], v[48:49], off offset:16
	v_add_f64 v[158:159], v[150:151], v[148:149]
	s_waitcnt vmcnt(7)
	v_mul_f64 v[160:161], v[62:63], v[114:115]
	s_waitcnt vmcnt(6)
	v_mul_f64 v[36:37], v[66:67], v[134:135]
	s_waitcnt lgkmcnt(0)
	v_mul_f64 v[48:49], v[127:128], v[134:135]
	v_add_f64 v[122:123], v[122:123], -v[130:131]
	v_add_f64 v[68:69], v[156:157], v[130:131]
	v_fma_f64 v[108:109], v[112:113], v[102:103], -v[160:161]
	v_fma_f64 v[160:161], v[132:133], v[127:128], -v[36:37]
	v_mul_f64 v[36:37], v[102:103], v[114:115]
	v_fma_f64 v[127:128], v[158:159], -0.5, v[74:75]
	s_waitcnt vmcnt(4)
	v_mul_f64 v[114:115], v[64:65], v[154:155]
	v_mul_f64 v[102:103], v[60:61], v[138:139]
	v_fma_f64 v[133:134], v[66:67], v[132:133], v[48:49]
	ds_read_b64 v[66:67], v99
	v_add_f64 v[74:75], v[74:75], v[150:151]
	v_add_f64 v[129:130], v[108:109], v[160:161]
	v_fma_f64 v[62:63], v[62:63], v[112:113], v[36:37]
	v_fma_f64 v[36:37], v[122:123], s[8:9], v[127:128]
	;; [unrolled: 1-line block ×3, first 2 shown]
	ds_read_b64 v[122:123], v81
	v_mul_f64 v[127:128], v[100:101], v[138:139]
	v_add_co_u32_e32 v112, vcc, s0, v76
	v_addc_co_u32_e32 v113, vcc, 0, v77, vcc
	v_add_co_u32_e32 v76, vcc, s14, v76
	v_fma_f64 v[158:159], v[152:153], v[125:126], -v[114:115]
	v_mul_f64 v[125:126], v[125:126], v[154:155]
	v_addc_co_u32_e32 v77, vcc, 0, v77, vcc
	v_fma_f64 v[156:157], v[136:137], v[100:101], -v[102:103]
	global_load_dwordx4 v[99:102], v[76:77], off offset:512
	s_nop 0
	global_load_dwordx4 v[112:115], v[112:113], off offset:16
	v_fma_f64 v[137:138], v[60:61], v[136:137], v[127:128]
	v_add_co_u32_e32 v60, vcc, s0, v70
	v_addc_co_u32_e32 v61, vcc, 0, v71, vcc
	v_add_co_u32_e32 v70, vcc, s14, v70
	v_addc_co_u32_e32 v71, vcc, 0, v71, vcc
	s_waitcnt lgkmcnt(1)
	v_fma_f64 v[150:151], v[129:130], -0.5, v[66:67]
	v_fma_f64 v[64:65], v[64:65], v[152:153], v[125:126]
	global_load_dwordx4 v[125:128], v[70:71], off offset:512
	global_load_dwordx4 v[129:132], v[60:61], off offset:16
	v_add_f64 v[162:163], v[62:63], v[133:134]
	v_add_f64 v[60:61], v[62:63], -v[133:134]
	v_add_f64 v[70:71], v[66:67], v[108:109]
	v_add_f64 v[108:109], v[108:109], -v[160:161]
	v_add_f64 v[152:153], v[72:73], v[62:63]
	ds_read_b64 v[154:155], v80
	v_add_f64 v[66:67], v[74:75], v[148:149]
	v_add_f64 v[164:165], v[156:157], v[158:159]
	v_fma_f64 v[135:136], v[162:163], -0.5, v[72:73]
	v_fma_f64 v[62:63], v[60:61], s[6:7], v[150:151]
	v_fma_f64 v[72:73], v[60:61], s[8:9], v[150:151]
	v_add_f64 v[76:77], v[70:71], v[160:161]
	v_add_f64 v[74:75], v[152:153], v[133:134]
	;; [unrolled: 1-line block ×3, first 2 shown]
	s_mov_b32 s0, 0x50e89cc3
	s_waitcnt lgkmcnt(1)
	v_fma_f64 v[162:163], v[164:165], -0.5, v[122:123]
	v_fma_f64 v[60:61], v[108:109], s[8:9], v[135:136]
	v_fma_f64 v[70:71], v[108:109], s[6:7], v[135:136]
	ds_read2_b64 v[133:136], v97 offset0:76 offset1:157
	ds_read2_b64 v[148:151], v98 offset0:118 offset1:199
	v_add_f64 v[122:123], v[122:123], v[156:157]
	s_waitcnt vmcnt(7)
	v_mul_f64 v[97:98], v[54:55], v[106:107]
	s_waitcnt vmcnt(6)
	v_mul_f64 v[160:161], v[58:59], v[118:119]
	s_waitcnt lgkmcnt(1)
	v_mul_f64 v[106:107], v[135:136], v[106:107]
	s_waitcnt lgkmcnt(0)
	v_mul_f64 v[118:119], v[150:151], v[118:119]
	v_fma_f64 v[152:153], v[152:153], -0.5, v[78:79]
	v_add_f64 v[156:157], v[156:157], -v[158:159]
	v_add_f64 v[164:165], v[137:138], -v[64:65]
	v_add_f64 v[137:138], v[78:79], v[137:138]
	v_fma_f64 v[97:98], v[104:105], v[135:136], -v[97:98]
	v_fma_f64 v[135:136], v[116:117], v[150:151], -v[160:161]
	v_fma_f64 v[54:55], v[54:55], v[104:105], v[106:107]
	v_fma_f64 v[103:104], v[58:59], v[116:117], v[118:119]
	s_waitcnt vmcnt(5)
	v_mul_f64 v[58:59], v[52:53], v[142:143]
	s_waitcnt vmcnt(4)
	v_mul_f64 v[150:151], v[56:57], v[146:147]
	v_add_f64 v[118:119], v[122:123], v[158:159]
	v_fma_f64 v[78:79], v[156:157], s[8:9], v[152:153]
	v_fma_f64 v[106:107], v[156:157], s[6:7], v[152:153]
	v_add_f64 v[122:123], v[97:98], v[135:136]
	v_add_f64 v[116:117], v[137:138], v[64:65]
	v_add_f64 v[64:65], v[54:55], v[103:104]
	v_fma_f64 v[152:153], v[140:141], v[133:134], -v[58:59]
	v_mul_f64 v[58:59], v[133:134], v[142:143]
	v_fma_f64 v[150:151], v[144:145], v[148:149], -v[150:151]
	v_mul_f64 v[133:134], v[148:149], v[146:147]
	v_add_f64 v[142:143], v[154:155], v[97:98]
	v_fma_f64 v[122:123], v[122:123], -0.5, v[154:155]
	ds_read_b64 v[146:147], v96
	v_add_f64 v[137:138], v[54:55], -v[103:104]
	v_fma_f64 v[64:65], v[64:65], -0.5, v[88:89]
	v_fma_f64 v[154:155], v[52:53], v[140:141], v[58:59]
	v_add_u32_e32 v52, v93, v111
	ds_read_b64 v[139:140], v52
	v_add_f64 v[96:97], v[97:98], -v[135:136]
	v_add_f64 v[148:149], v[152:153], v[150:151]
	v_fma_f64 v[156:157], v[56:57], v[144:145], v[133:134]
	v_add_f64 v[88:89], v[88:89], v[54:55]
	v_fma_f64 v[54:55], v[137:138], s[6:7], v[122:123]
	v_fma_f64 v[58:59], v[137:138], s[8:9], v[122:123]
	v_add_f64 v[135:136], v[142:143], v[135:136]
	v_fma_f64 v[80:81], v[164:165], s[6:7], v[162:163]
	v_fma_f64 v[52:53], v[96:97], s[8:9], v[64:65]
	s_waitcnt lgkmcnt(0)
	v_fma_f64 v[122:123], v[148:149], -0.5, v[139:140]
	v_fma_f64 v[56:57], v[96:97], s[6:7], v[64:65]
	v_add_f64 v[64:65], v[139:140], v[152:153]
	ds_read2_b64 v[137:140], v94 offset0:42 offset1:123
	ds_read2_b64 v[141:144], v95 offset0:84 offset1:165
	v_add_f64 v[148:149], v[154:155], -v[156:157]
	s_waitcnt vmcnt(3)
	v_mul_f64 v[160:161], v[42:43], v[101:102]
	v_fma_f64 v[108:109], v[164:165], s[8:9], v[162:163]
	v_add_f64 v[158:159], v[154:155], v[156:157]
	s_waitcnt vmcnt(2)
	v_mul_f64 v[162:163], v[46:47], v[114:115]
	s_waitcnt lgkmcnt(1)
	v_mul_f64 v[93:94], v[139:140], v[101:102]
	s_waitcnt lgkmcnt(0)
	v_mul_f64 v[101:102], v[143:144], v[114:115]
	v_add_f64 v[133:134], v[88:89], v[103:104]
	v_fma_f64 v[96:97], v[148:149], s[6:7], v[122:123]
	v_fma_f64 v[88:89], v[148:149], s[8:9], v[122:123]
	v_fma_f64 v[122:123], v[99:100], v[139:140], -v[160:161]
	v_add_f64 v[103:104], v[64:65], v[150:151]
	v_fma_f64 v[64:65], v[158:159], -0.5, v[86:87]
	s_waitcnt vmcnt(1)
	v_mul_f64 v[114:115], v[40:41], v[127:128]
	s_waitcnt vmcnt(0)
	v_mul_f64 v[139:140], v[44:45], v[131:132]
	v_fma_f64 v[148:149], v[112:113], v[143:144], -v[162:163]
	v_add_f64 v[143:144], v[152:153], -v[150:151]
	v_fma_f64 v[42:43], v[42:43], v[99:100], v[93:94]
	v_fma_f64 v[46:47], v[46:47], v[112:113], v[101:102]
	ds_read_b64 v[110:111], v92
	v_mul_f64 v[100:101], v[137:138], v[127:128]
	v_fma_f64 v[92:93], v[125:126], v[137:138], -v[114:115]
	v_fma_f64 v[98:99], v[129:130], v[141:142], -v[139:140]
	v_mul_f64 v[112:113], v[141:142], v[131:132]
	v_fma_f64 v[94:95], v[143:144], s[8:9], v[64:65]
	v_add_f64 v[114:115], v[86:87], v[154:155]
	v_fma_f64 v[86:87], v[143:144], s[6:7], v[64:65]
	v_add_f64 v[64:65], v[42:43], v[46:47]
	v_add_f64 v[150:151], v[122:123], v[148:149]
	v_fma_f64 v[40:41], v[40:41], v[125:126], v[100:101]
	v_add_f64 v[131:132], v[92:93], v[98:99]
	v_fma_f64 v[137:138], v[44:45], v[129:130], v[112:113]
	v_add_f64 v[112:113], v[42:43], -v[46:47]
	v_add_f64 v[101:102], v[114:115], v[156:157]
	v_add_f64 v[114:115], v[122:123], -v[148:149]
	v_fma_f64 v[64:65], v[64:65], -0.5, v[84:85]
	v_add_f64 v[84:85], v[84:85], v[42:43]
	s_waitcnt lgkmcnt(0)
	v_fma_f64 v[127:128], v[150:151], -0.5, v[110:111]
	v_add_f64 v[110:111], v[110:111], v[122:123]
	v_fma_f64 v[122:123], v[131:132], -0.5, v[146:147]
	v_add_f64 v[131:132], v[40:41], v[137:138]
	v_mul_hi_u32 v100, v124, s0
	v_add_f64 v[129:130], v[40:41], -v[137:138]
	v_add_f64 v[40:41], v[82:83], v[40:41]
	v_add_f64 v[125:126], v[84:85], v[46:47]
	;; [unrolled: 1-line block ×3, first 2 shown]
	v_lshrrev_b32_e32 v100, 8, v100
	v_mul_u32_u24_e32 v100, 0x32a, v100
	v_sub_u32_e32 v100, v124, v100
	v_fma_f64 v[44:45], v[112:113], s[6:7], v[127:128]
	v_fma_f64 v[112:113], v[112:113], s[8:9], v[127:128]
	v_add_f64 v[127:128], v[110:111], v[148:149]
	v_fma_f64 v[42:43], v[114:115], s[8:9], v[64:65]
	v_fma_f64 v[110:111], v[114:115], s[6:7], v[64:65]
	v_mad_u64_u32 v[114:115], s[4:5], s2, v100, 0
	v_fma_f64 v[64:65], v[131:132], -0.5, v[82:83]
	v_add_f64 v[92:93], v[92:93], -v[98:99]
	v_add_f64 v[139:140], v[46:47], v[98:99]
	v_mov_b32_e32 v46, v115
	v_mad_u64_u32 v[46:47], s[4:5], s3, v100, v[46:47]
	v_add_f64 v[137:138], v[40:41], v[137:138]
	v_lshlrev_b64 v[40:41], 4, v[90:91]
	v_fma_f64 v[84:85], v[129:130], s[6:7], v[122:123]
	v_fma_f64 v[131:132], v[129:130], s[8:9], v[122:123]
	;; [unrolled: 1-line block ×4, first 2 shown]
	v_mov_b32_e32 v115, v46
	v_mov_b32_e32 v46, s11
	v_add_co_u32_e32 v64, vcc, s10, v40
	v_add_u32_e32 v90, 0x32a, v100
	v_addc_co_u32_e32 v65, vcc, v46, v41, vcc
	v_mad_u64_u32 v[46:47], s[4:5], s2, v90, 0
	v_lshlrev_b64 v[40:41], 4, v[120:121]
	v_add_co_u32_e32 v40, vcc, v64, v40
	v_mad_u64_u32 v[90:91], s[4:5], s3, v90, v[47:48]
	v_addc_co_u32_e32 v41, vcc, v65, v41, vcc
	v_lshlrev_b64 v[64:65], 4, v[114:115]
	v_mov_b32_e32 v47, v90
	v_add_co_u32_e32 v64, vcc, v40, v64
	v_addc_co_u32_e32 v65, vcc, v41, v65, vcc
	v_add_u32_e32 v90, 0x654, v100
	global_store_dwordx4 v[64:65], v[137:140], off
	v_mad_u64_u32 v[64:65], s[4:5], s2, v90, 0
	v_lshlrev_b64 v[46:47], 4, v[46:47]
	v_mad_u64_u32 v[90:91], s[4:5], s3, v90, v[65:66]
	v_add_u32_e32 v91, 0x51, v124
	v_mul_hi_u32 v92, v91, s0
	v_add_co_u32_e32 v46, vcc, v40, v46
	v_addc_co_u32_e32 v47, vcc, v41, v47, vcc
	v_mov_b32_e32 v65, v90
	global_store_dwordx4 v[46:47], v[129:132], off
	v_lshlrev_b64 v[46:47], 4, v[64:65]
	v_lshrrev_b32_e32 v64, 8, v92
	v_mul_u32_u24_e32 v65, 0x32a, v64
	v_sub_u32_e32 v65, v91, v65
	v_mad_u32_u24 v93, v64, s1, v65
	v_mad_u64_u32 v[64:65], s[4:5], s2, v93, 0
	v_add_u32_e32 v98, 0x32a, v93
	v_add_co_u32_e32 v46, vcc, v40, v46
	v_mad_u64_u32 v[90:91], s[4:5], s3, v93, v[65:66]
	v_mad_u64_u32 v[91:92], s[4:5], s2, v98, 0
	v_addc_co_u32_e32 v47, vcc, v41, v47, vcc
	v_mov_b32_e32 v65, v90
	global_store_dwordx4 v[46:47], v[82:85], off
	v_lshlrev_b64 v[46:47], 4, v[64:65]
	v_mov_b32_e32 v64, v92
	v_mad_u64_u32 v[64:65], s[4:5], s3, v98, v[64:65]
	v_add_u32_e32 v82, 0x654, v93
	v_add_co_u32_e32 v46, vcc, v40, v46
	v_mov_b32_e32 v92, v64
	v_mad_u64_u32 v[64:65], s[4:5], s2, v82, 0
	v_addc_co_u32_e32 v47, vcc, v41, v47, vcc
	v_mad_u64_u32 v[82:83], s[4:5], s3, v82, v[65:66]
	v_add_u32_e32 v83, 0xa2, v124
	global_store_dwordx4 v[46:47], v[125:128], off
	v_lshlrev_b64 v[46:47], 4, v[91:92]
	v_mul_hi_u32 v84, v83, s0
	v_add_co_u32_e32 v46, vcc, v40, v46
	v_addc_co_u32_e32 v47, vcc, v41, v47, vcc
	v_mov_b32_e32 v65, v82
	global_store_dwordx4 v[46:47], v[110:113], off
	v_lshlrev_b64 v[46:47], 4, v[64:65]
	v_lshrrev_b32_e32 v64, 8, v84
	v_mul_u32_u24_e32 v65, 0x32a, v64
	v_sub_u32_e32 v65, v83, v65
	v_mad_u32_u24 v85, v64, s1, v65
	v_mad_u64_u32 v[64:65], s[4:5], s2, v85, 0
	v_add_u32_e32 v90, 0x32a, v85
	v_add_co_u32_e32 v46, vcc, v40, v46
	v_mad_u64_u32 v[82:83], s[4:5], s3, v85, v[65:66]
	v_mad_u64_u32 v[83:84], s[4:5], s2, v90, 0
	v_addc_co_u32_e32 v47, vcc, v41, v47, vcc
	global_store_dwordx4 v[46:47], v[42:45], off
	v_add_u32_e32 v46, 0x654, v85
	v_mov_b32_e32 v44, v84
	v_mad_u64_u32 v[44:45], s[4:5], s3, v90, v[44:45]
	v_mov_b32_e32 v65, v82
	v_lshlrev_b64 v[42:43], 4, v[64:65]
	v_mov_b32_e32 v84, v44
	v_mad_u64_u32 v[44:45], s[4:5], s2, v46, 0
	v_add_co_u32_e32 v42, vcc, v40, v42
	v_mad_u64_u32 v[45:46], s[4:5], s3, v46, v[45:46]
	v_addc_co_u32_e32 v43, vcc, v41, v43, vcc
	v_add_u32_e32 v46, 0xf3, v124
	global_store_dwordx4 v[42:43], v[101:104], off
	v_lshlrev_b64 v[42:43], 4, v[83:84]
	v_mul_hi_u32 v47, v46, s0
	v_add_co_u32_e32 v42, vcc, v40, v42
	v_addc_co_u32_e32 v43, vcc, v41, v43, vcc
	global_store_dwordx4 v[42:43], v[86:89], off
	v_lshlrev_b64 v[42:43], 4, v[44:45]
	v_lshrrev_b32_e32 v44, 8, v47
	v_mul_u32_u24_e32 v45, 0x32a, v44
	v_sub_u32_e32 v45, v46, v45
	v_mad_u32_u24 v64, v44, s1, v45
	v_mad_u64_u32 v[44:45], s[4:5], s2, v64, 0
	v_add_u32_e32 v65, 0x32a, v64
	v_add_co_u32_e32 v42, vcc, v40, v42
	v_mad_u64_u32 v[45:46], s[4:5], s3, v64, v[45:46]
	v_mad_u64_u32 v[46:47], s[4:5], s2, v65, 0
	v_addc_co_u32_e32 v43, vcc, v41, v43, vcc
	global_store_dwordx4 v[42:43], v[94:97], off
	v_lshlrev_b64 v[42:43], 4, v[44:45]
	v_mov_b32_e32 v44, v47
	v_mad_u64_u32 v[44:45], s[4:5], s3, v65, v[44:45]
	v_add_co_u32_e32 v42, vcc, v40, v42
	v_addc_co_u32_e32 v43, vcc, v41, v43, vcc
	v_mov_b32_e32 v47, v44
	global_store_dwordx4 v[42:43], v[133:136], off
	v_lshlrev_b64 v[42:43], 4, v[46:47]
	v_add_u32_e32 v46, 0x654, v64
	v_mad_u64_u32 v[44:45], s[4:5], s2, v46, 0
	v_add_co_u32_e32 v42, vcc, v40, v42
	v_mad_u64_u32 v[45:46], s[4:5], s3, v46, v[45:46]
	v_add_u32_e32 v46, 0x144, v124
	v_mul_hi_u32 v47, v46, s0
	v_addc_co_u32_e32 v43, vcc, v41, v43, vcc
	global_store_dwordx4 v[42:43], v[56:59], off
	v_lshlrev_b64 v[42:43], 4, v[44:45]
	v_lshrrev_b32_e32 v44, 8, v47
	v_mul_u32_u24_e32 v45, 0x32a, v44
	v_sub_u32_e32 v45, v46, v45
	v_mad_u32_u24 v56, v44, s1, v45
	v_mad_u64_u32 v[44:45], s[4:5], s2, v56, 0
	v_add_u32_e32 v57, 0x32a, v56
	v_add_co_u32_e32 v42, vcc, v40, v42
	v_mad_u64_u32 v[45:46], s[4:5], s3, v56, v[45:46]
	v_mad_u64_u32 v[46:47], s[4:5], s2, v57, 0
	v_addc_co_u32_e32 v43, vcc, v41, v43, vcc
	global_store_dwordx4 v[42:43], v[52:55], off
	v_lshlrev_b64 v[42:43], 4, v[44:45]
	v_mov_b32_e32 v44, v47
	v_mad_u64_u32 v[44:45], s[4:5], s3, v57, v[44:45]
	v_add_co_u32_e32 v42, vcc, v40, v42
	v_addc_co_u32_e32 v43, vcc, v41, v43, vcc
	v_mov_b32_e32 v47, v44
	global_store_dwordx4 v[42:43], v[116:119], off
	v_lshlrev_b64 v[42:43], 4, v[46:47]
	v_add_u32_e32 v46, 0x654, v56
	v_mad_u64_u32 v[44:45], s[4:5], s2, v46, 0
	v_add_co_u32_e32 v42, vcc, v40, v42
	v_mad_u64_u32 v[45:46], s[4:5], s3, v46, v[45:46]
	v_add_u32_e32 v46, 0x195, v124
	v_mul_hi_u32 v47, v46, s0
	;; [unrolled: 28-line block ×4, first 2 shown]
	v_addc_co_u32_e32 v43, vcc, v41, v43, vcc
	global_store_dwordx4 v[42:43], v[48:51], off
	v_lshlrev_b64 v[42:43], 4, v[44:45]
	v_lshrrev_b32_e32 v44, 8, v47
	v_mul_u32_u24_e32 v45, 0x32a, v44
	v_sub_u32_e32 v45, v46, v45
	v_mad_u32_u24 v48, v44, s1, v45
	v_mad_u64_u32 v[44:45], s[4:5], s2, v48, 0
	v_add_co_u32_e32 v42, vcc, v40, v42
	v_mad_u64_u32 v[45:46], s[4:5], s3, v48, v[45:46]
	v_addc_co_u32_e32 v43, vcc, v41, v43, vcc
	v_add_u32_e32 v49, 0x32a, v48
	global_store_dwordx4 v[42:43], v[36:39], off
	v_mad_u64_u32 v[46:47], s[4:5], s2, v49, 0
	v_lshlrev_b64 v[36:37], 4, v[44:45]
	v_add_co_u32_e32 v36, vcc, v40, v36
	v_addc_co_u32_e32 v37, vcc, v41, v37, vcc
	global_store_dwordx4 v[36:37], v[32:35], off
	v_add_u32_e32 v36, 0x654, v48
	v_mov_b32_e32 v38, v47
	v_mad_u64_u32 v[34:35], s[4:5], s2, v36, 0
	v_mad_u64_u32 v[38:39], s[4:5], s3, v49, v[38:39]
	;; [unrolled: 1-line block ×3, first 2 shown]
	v_mov_b32_e32 v47, v38
	v_add_u32_e32 v36, 0x288, v124
	v_lshlrev_b64 v[32:33], 4, v[46:47]
	v_mul_hi_u32 v37, v36, s0
	v_add_co_u32_e32 v32, vcc, v40, v32
	v_addc_co_u32_e32 v33, vcc, v41, v33, vcc
	global_store_dwordx4 v[32:33], v[28:31], off
	s_nop 0
	v_lshrrev_b32_e32 v30, 8, v37
	v_mul_u32_u24_e32 v31, 0x32a, v30
	v_sub_u32_e32 v31, v36, v31
	v_lshlrev_b64 v[28:29], 4, v[34:35]
	v_mad_u32_u24 v34, v30, s1, v31
	v_mad_u64_u32 v[30:31], s[4:5], s2, v34, 0
	v_add_u32_e32 v35, 0x32a, v34
	v_add_co_u32_e32 v28, vcc, v40, v28
	v_mad_u64_u32 v[31:32], s[4:5], s3, v34, v[31:32]
	v_mad_u64_u32 v[32:33], s[4:5], s2, v35, 0
	v_addc_co_u32_e32 v29, vcc, v41, v29, vcc
	global_store_dwordx4 v[28:29], v[24:27], off
	s_nop 0
	v_lshlrev_b64 v[24:25], 4, v[30:31]
	v_mov_b32_e32 v26, v33
	v_mad_u64_u32 v[26:27], s[4:5], s3, v35, v[26:27]
	v_add_co_u32_e32 v24, vcc, v40, v24
	v_addc_co_u32_e32 v25, vcc, v41, v25, vcc
	global_store_dwordx4 v[24:25], v[20:23], off
	v_add_u32_e32 v24, 0x654, v34
	v_mad_u64_u32 v[22:23], s[4:5], s2, v24, 0
	v_add_u32_e32 v25, 0x2d9, v124
	v_mov_b32_e32 v33, v26
	v_mul_hi_u32 v26, v25, s0
	v_mad_u64_u32 v[23:24], s[4:5], s3, v24, v[23:24]
	v_lshlrev_b64 v[20:21], 4, v[32:33]
	v_lshrrev_b32_e32 v24, 8, v26
	v_mul_u32_u24_e32 v26, 0x32a, v24
	v_add_co_u32_e32 v20, vcc, v40, v20
	v_sub_u32_e32 v25, v25, v26
	v_addc_co_u32_e32 v21, vcc, v41, v21, vcc
	v_mad_u32_u24 v26, v24, s1, v25
	v_mad_u64_u32 v[24:25], s[0:1], s2, v26, 0
	global_store_dwordx4 v[20:21], v[16:19], off
	s_nop 0
	v_lshlrev_b64 v[16:17], 4, v[22:23]
	v_mov_b32_e32 v18, v25
	v_add_co_u32_e32 v16, vcc, v40, v16
	v_addc_co_u32_e32 v17, vcc, v41, v17, vcc
	global_store_dwordx4 v[16:17], v[12:15], off
	v_add_u32_e32 v16, 0x32a, v26
	v_mad_u64_u32 v[18:19], s[0:1], s3, v26, v[18:19]
	v_mad_u64_u32 v[14:15], s[0:1], s2, v16, 0
	v_mov_b32_e32 v25, v18
	v_add_u32_e32 v18, 0x654, v26
	v_mad_u64_u32 v[15:16], s[0:1], s3, v16, v[15:16]
	v_lshlrev_b64 v[12:13], 4, v[24:25]
	v_mad_u64_u32 v[16:17], s[0:1], s2, v18, 0
	v_add_co_u32_e32 v12, vcc, v40, v12
	v_addc_co_u32_e32 v13, vcc, v41, v13, vcc
	global_store_dwordx4 v[12:13], v[8:11], off
	s_nop 0
	v_mov_b32_e32 v10, v17
	v_mad_u64_u32 v[10:11], s[0:1], s3, v18, v[10:11]
	v_lshlrev_b64 v[8:9], 4, v[14:15]
	v_add_co_u32_e32 v8, vcc, v40, v8
	v_addc_co_u32_e32 v9, vcc, v41, v9, vcc
	v_mov_b32_e32 v17, v10
	global_store_dwordx4 v[8:9], v[4:7], off
	s_nop 0
	v_lshlrev_b64 v[4:5], 4, v[16:17]
	v_add_co_u32_e32 v4, vcc, v40, v4
	v_addc_co_u32_e32 v5, vcc, v41, v5, vcc
	global_store_dwordx4 v[4:5], v[0:3], off
.LBB0_15:
	s_endpgm
	.section	.rodata,"a",@progbits
	.p2align	6, 0x0
	.amdhsa_kernel fft_rtc_back_len2430_factors_10_3_3_3_3_3_wgs_81_tpt_81_halfLds_dp_op_CI_CI_sbrr_dirReg
		.amdhsa_group_segment_fixed_size 0
		.amdhsa_private_segment_fixed_size 0
		.amdhsa_kernarg_size 104
		.amdhsa_user_sgpr_count 6
		.amdhsa_user_sgpr_private_segment_buffer 1
		.amdhsa_user_sgpr_dispatch_ptr 0
		.amdhsa_user_sgpr_queue_ptr 0
		.amdhsa_user_sgpr_kernarg_segment_ptr 1
		.amdhsa_user_sgpr_dispatch_id 0
		.amdhsa_user_sgpr_flat_scratch_init 0
		.amdhsa_user_sgpr_private_segment_size 0
		.amdhsa_uses_dynamic_stack 0
		.amdhsa_system_sgpr_private_segment_wavefront_offset 0
		.amdhsa_system_sgpr_workgroup_id_x 1
		.amdhsa_system_sgpr_workgroup_id_y 0
		.amdhsa_system_sgpr_workgroup_id_z 0
		.amdhsa_system_sgpr_workgroup_info 0
		.amdhsa_system_vgpr_workitem_id 0
		.amdhsa_next_free_vgpr 250
		.amdhsa_next_free_sgpr 32
		.amdhsa_reserve_vcc 1
		.amdhsa_reserve_flat_scratch 0
		.amdhsa_float_round_mode_32 0
		.amdhsa_float_round_mode_16_64 0
		.amdhsa_float_denorm_mode_32 3
		.amdhsa_float_denorm_mode_16_64 3
		.amdhsa_dx10_clamp 1
		.amdhsa_ieee_mode 1
		.amdhsa_fp16_overflow 0
		.amdhsa_exception_fp_ieee_invalid_op 0
		.amdhsa_exception_fp_denorm_src 0
		.amdhsa_exception_fp_ieee_div_zero 0
		.amdhsa_exception_fp_ieee_overflow 0
		.amdhsa_exception_fp_ieee_underflow 0
		.amdhsa_exception_fp_ieee_inexact 0
		.amdhsa_exception_int_div_zero 0
	.end_amdhsa_kernel
	.text
.Lfunc_end0:
	.size	fft_rtc_back_len2430_factors_10_3_3_3_3_3_wgs_81_tpt_81_halfLds_dp_op_CI_CI_sbrr_dirReg, .Lfunc_end0-fft_rtc_back_len2430_factors_10_3_3_3_3_3_wgs_81_tpt_81_halfLds_dp_op_CI_CI_sbrr_dirReg
                                        ; -- End function
	.section	.AMDGPU.csdata,"",@progbits
; Kernel info:
; codeLenInByte = 25092
; NumSgprs: 36
; NumVgprs: 250
; ScratchSize: 0
; MemoryBound: 1
; FloatMode: 240
; IeeeMode: 1
; LDSByteSize: 0 bytes/workgroup (compile time only)
; SGPRBlocks: 4
; VGPRBlocks: 62
; NumSGPRsForWavesPerEU: 36
; NumVGPRsForWavesPerEU: 250
; Occupancy: 1
; WaveLimiterHint : 1
; COMPUTE_PGM_RSRC2:SCRATCH_EN: 0
; COMPUTE_PGM_RSRC2:USER_SGPR: 6
; COMPUTE_PGM_RSRC2:TRAP_HANDLER: 0
; COMPUTE_PGM_RSRC2:TGID_X_EN: 1
; COMPUTE_PGM_RSRC2:TGID_Y_EN: 0
; COMPUTE_PGM_RSRC2:TGID_Z_EN: 0
; COMPUTE_PGM_RSRC2:TIDIG_COMP_CNT: 0
	.type	__hip_cuid_12812fb89db0a6fb,@object ; @__hip_cuid_12812fb89db0a6fb
	.section	.bss,"aw",@nobits
	.globl	__hip_cuid_12812fb89db0a6fb
__hip_cuid_12812fb89db0a6fb:
	.byte	0                               ; 0x0
	.size	__hip_cuid_12812fb89db0a6fb, 1

	.ident	"AMD clang version 19.0.0git (https://github.com/RadeonOpenCompute/llvm-project roc-6.4.0 25133 c7fe45cf4b819c5991fe208aaa96edf142730f1d)"
	.section	".note.GNU-stack","",@progbits
	.addrsig
	.addrsig_sym __hip_cuid_12812fb89db0a6fb
	.amdgpu_metadata
---
amdhsa.kernels:
  - .args:
      - .actual_access:  read_only
        .address_space:  global
        .offset:         0
        .size:           8
        .value_kind:     global_buffer
      - .offset:         8
        .size:           8
        .value_kind:     by_value
      - .actual_access:  read_only
        .address_space:  global
        .offset:         16
        .size:           8
        .value_kind:     global_buffer
      - .actual_access:  read_only
        .address_space:  global
        .offset:         24
        .size:           8
        .value_kind:     global_buffer
      - .actual_access:  read_only
        .address_space:  global
        .offset:         32
        .size:           8
        .value_kind:     global_buffer
      - .offset:         40
        .size:           8
        .value_kind:     by_value
      - .actual_access:  read_only
        .address_space:  global
        .offset:         48
        .size:           8
        .value_kind:     global_buffer
      - .actual_access:  read_only
        .address_space:  global
        .offset:         56
        .size:           8
        .value_kind:     global_buffer
      - .offset:         64
        .size:           4
        .value_kind:     by_value
      - .actual_access:  read_only
        .address_space:  global
        .offset:         72
        .size:           8
        .value_kind:     global_buffer
      - .actual_access:  read_only
        .address_space:  global
        .offset:         80
        .size:           8
        .value_kind:     global_buffer
      - .actual_access:  read_only
        .address_space:  global
        .offset:         88
        .size:           8
        .value_kind:     global_buffer
      - .actual_access:  write_only
        .address_space:  global
        .offset:         96
        .size:           8
        .value_kind:     global_buffer
    .group_segment_fixed_size: 0
    .kernarg_segment_align: 8
    .kernarg_segment_size: 104
    .language:       OpenCL C
    .language_version:
      - 2
      - 0
    .max_flat_workgroup_size: 81
    .name:           fft_rtc_back_len2430_factors_10_3_3_3_3_3_wgs_81_tpt_81_halfLds_dp_op_CI_CI_sbrr_dirReg
    .private_segment_fixed_size: 0
    .sgpr_count:     36
    .sgpr_spill_count: 0
    .symbol:         fft_rtc_back_len2430_factors_10_3_3_3_3_3_wgs_81_tpt_81_halfLds_dp_op_CI_CI_sbrr_dirReg.kd
    .uniform_work_group_size: 1
    .uses_dynamic_stack: false
    .vgpr_count:     250
    .vgpr_spill_count: 0
    .wavefront_size: 64
amdhsa.target:   amdgcn-amd-amdhsa--gfx906
amdhsa.version:
  - 1
  - 2
...

	.end_amdgpu_metadata
